;; amdgpu-corpus repo=ROCm/rocFFT kind=compiled arch=gfx1201 opt=O3
	.text
	.amdgcn_target "amdgcn-amd-amdhsa--gfx1201"
	.amdhsa_code_object_version 6
	.protected	fft_rtc_fwd_len4000_factors_10_10_10_4_wgs_200_tpt_200_halfLds_dp_op_CI_CI_unitstride_sbrr_R2C_dirReg ; -- Begin function fft_rtc_fwd_len4000_factors_10_10_10_4_wgs_200_tpt_200_halfLds_dp_op_CI_CI_unitstride_sbrr_R2C_dirReg
	.globl	fft_rtc_fwd_len4000_factors_10_10_10_4_wgs_200_tpt_200_halfLds_dp_op_CI_CI_unitstride_sbrr_R2C_dirReg
	.p2align	8
	.type	fft_rtc_fwd_len4000_factors_10_10_10_4_wgs_200_tpt_200_halfLds_dp_op_CI_CI_unitstride_sbrr_R2C_dirReg,@function
fft_rtc_fwd_len4000_factors_10_10_10_4_wgs_200_tpt_200_halfLds_dp_op_CI_CI_unitstride_sbrr_R2C_dirReg: ; @fft_rtc_fwd_len4000_factors_10_10_10_4_wgs_200_tpt_200_halfLds_dp_op_CI_CI_unitstride_sbrr_R2C_dirReg
; %bb.0:
	s_clause 0x2
	s_load_b128 s[8:11], s[0:1], 0x0
	s_load_b128 s[4:7], s[0:1], 0x58
	;; [unrolled: 1-line block ×3, first 2 shown]
	v_mul_u32_u24_e32 v1, 0x148, v0
	v_mov_b32_e32 v3, 0
	s_delay_alu instid0(VALU_DEP_2) | instskip(NEXT) | instid1(VALU_DEP_1)
	v_lshrrev_b32_e32 v1, 16, v1
	v_add_nc_u32_e32 v5, ttmp9, v1
	v_mov_b32_e32 v1, 0
	v_mov_b32_e32 v2, 0
	;; [unrolled: 1-line block ×3, first 2 shown]
	s_wait_kmcnt 0x0
	v_cmp_lt_u64_e64 s2, s[10:11], 2
	s_delay_alu instid0(VALU_DEP_1)
	s_and_b32 vcc_lo, exec_lo, s2
	s_cbranch_vccnz .LBB0_8
; %bb.1:
	s_load_b64 s[2:3], s[0:1], 0x10
	v_mov_b32_e32 v1, 0
	v_mov_b32_e32 v2, 0
	s_add_nc_u64 s[16:17], s[14:15], 8
	s_add_nc_u64 s[18:19], s[12:13], 8
	s_mov_b64 s[20:21], 1
	s_delay_alu instid0(VALU_DEP_1)
	v_dual_mov_b32 v41, v2 :: v_dual_mov_b32 v40, v1
	s_wait_kmcnt 0x0
	s_add_nc_u64 s[22:23], s[2:3], 8
	s_mov_b32 s3, 0
.LBB0_2:                                ; =>This Inner Loop Header: Depth=1
	s_load_b64 s[24:25], s[22:23], 0x0
                                        ; implicit-def: $vgpr46_vgpr47
	s_mov_b32 s2, exec_lo
	s_wait_kmcnt 0x0
	v_or_b32_e32 v4, s25, v6
	s_delay_alu instid0(VALU_DEP_1)
	v_cmpx_ne_u64_e32 0, v[3:4]
	s_wait_alu 0xfffe
	s_xor_b32 s26, exec_lo, s2
	s_cbranch_execz .LBB0_4
; %bb.3:                                ;   in Loop: Header=BB0_2 Depth=1
	s_cvt_f32_u32 s2, s24
	s_cvt_f32_u32 s27, s25
	s_sub_nc_u64 s[30:31], 0, s[24:25]
	s_wait_alu 0xfffe
	s_delay_alu instid0(SALU_CYCLE_1) | instskip(SKIP_1) | instid1(SALU_CYCLE_2)
	s_fmamk_f32 s2, s27, 0x4f800000, s2
	s_wait_alu 0xfffe
	v_s_rcp_f32 s2, s2
	s_delay_alu instid0(TRANS32_DEP_1) | instskip(SKIP_1) | instid1(SALU_CYCLE_2)
	s_mul_f32 s2, s2, 0x5f7ffffc
	s_wait_alu 0xfffe
	s_mul_f32 s27, s2, 0x2f800000
	s_wait_alu 0xfffe
	s_delay_alu instid0(SALU_CYCLE_2) | instskip(SKIP_1) | instid1(SALU_CYCLE_2)
	s_trunc_f32 s27, s27
	s_wait_alu 0xfffe
	s_fmamk_f32 s2, s27, 0xcf800000, s2
	s_cvt_u32_f32 s29, s27
	s_wait_alu 0xfffe
	s_delay_alu instid0(SALU_CYCLE_1) | instskip(SKIP_1) | instid1(SALU_CYCLE_2)
	s_cvt_u32_f32 s28, s2
	s_wait_alu 0xfffe
	s_mul_u64 s[34:35], s[30:31], s[28:29]
	s_wait_alu 0xfffe
	s_mul_hi_u32 s37, s28, s35
	s_mul_i32 s36, s28, s35
	s_mul_hi_u32 s2, s28, s34
	s_mul_i32 s33, s29, s34
	s_wait_alu 0xfffe
	s_add_nc_u64 s[36:37], s[2:3], s[36:37]
	s_mul_hi_u32 s27, s29, s34
	s_mul_hi_u32 s38, s29, s35
	s_add_co_u32 s2, s36, s33
	s_wait_alu 0xfffe
	s_add_co_ci_u32 s2, s37, s27
	s_mul_i32 s34, s29, s35
	s_add_co_ci_u32 s35, s38, 0
	s_wait_alu 0xfffe
	s_add_nc_u64 s[34:35], s[2:3], s[34:35]
	s_wait_alu 0xfffe
	v_add_co_u32 v4, s2, s28, s34
	s_delay_alu instid0(VALU_DEP_1) | instskip(SKIP_1) | instid1(VALU_DEP_1)
	s_cmp_lg_u32 s2, 0
	s_add_co_ci_u32 s29, s29, s35
	v_readfirstlane_b32 s28, v4
	s_wait_alu 0xfffe
	s_delay_alu instid0(VALU_DEP_1)
	s_mul_u64 s[30:31], s[30:31], s[28:29]
	s_wait_alu 0xfffe
	s_mul_hi_u32 s35, s28, s31
	s_mul_i32 s34, s28, s31
	s_mul_hi_u32 s2, s28, s30
	s_mul_i32 s33, s29, s30
	s_wait_alu 0xfffe
	s_add_nc_u64 s[34:35], s[2:3], s[34:35]
	s_mul_hi_u32 s27, s29, s30
	s_mul_hi_u32 s28, s29, s31
	s_wait_alu 0xfffe
	s_add_co_u32 s2, s34, s33
	s_add_co_ci_u32 s2, s35, s27
	s_mul_i32 s30, s29, s31
	s_add_co_ci_u32 s31, s28, 0
	s_wait_alu 0xfffe
	s_add_nc_u64 s[30:31], s[2:3], s[30:31]
	s_wait_alu 0xfffe
	v_add_co_u32 v4, s2, v4, s30
	s_delay_alu instid0(VALU_DEP_1) | instskip(SKIP_1) | instid1(VALU_DEP_1)
	s_cmp_lg_u32 s2, 0
	s_add_co_ci_u32 s2, s29, s31
	v_mul_hi_u32 v13, v5, v4
	s_wait_alu 0xfffe
	v_mad_co_u64_u32 v[7:8], null, v5, s2, 0
	v_mad_co_u64_u32 v[9:10], null, v6, v4, 0
	;; [unrolled: 1-line block ×3, first 2 shown]
	s_delay_alu instid0(VALU_DEP_3) | instskip(SKIP_1) | instid1(VALU_DEP_4)
	v_add_co_u32 v4, vcc_lo, v13, v7
	s_wait_alu 0xfffd
	v_add_co_ci_u32_e32 v7, vcc_lo, 0, v8, vcc_lo
	s_delay_alu instid0(VALU_DEP_2) | instskip(SKIP_1) | instid1(VALU_DEP_2)
	v_add_co_u32 v4, vcc_lo, v4, v9
	s_wait_alu 0xfffd
	v_add_co_ci_u32_e32 v4, vcc_lo, v7, v10, vcc_lo
	s_wait_alu 0xfffd
	v_add_co_ci_u32_e32 v7, vcc_lo, 0, v12, vcc_lo
	s_delay_alu instid0(VALU_DEP_2) | instskip(SKIP_1) | instid1(VALU_DEP_2)
	v_add_co_u32 v4, vcc_lo, v4, v11
	s_wait_alu 0xfffd
	v_add_co_ci_u32_e32 v9, vcc_lo, 0, v7, vcc_lo
	s_delay_alu instid0(VALU_DEP_2) | instskip(SKIP_1) | instid1(VALU_DEP_3)
	v_mul_lo_u32 v10, s25, v4
	v_mad_co_u64_u32 v[7:8], null, s24, v4, 0
	v_mul_lo_u32 v11, s24, v9
	s_delay_alu instid0(VALU_DEP_2) | instskip(NEXT) | instid1(VALU_DEP_2)
	v_sub_co_u32 v7, vcc_lo, v5, v7
	v_add3_u32 v8, v8, v11, v10
	s_delay_alu instid0(VALU_DEP_1) | instskip(SKIP_1) | instid1(VALU_DEP_1)
	v_sub_nc_u32_e32 v10, v6, v8
	s_wait_alu 0xfffd
	v_subrev_co_ci_u32_e64 v10, s2, s25, v10, vcc_lo
	v_add_co_u32 v11, s2, v4, 2
	s_wait_alu 0xf1ff
	v_add_co_ci_u32_e64 v12, s2, 0, v9, s2
	v_sub_co_u32 v13, s2, v7, s24
	v_sub_co_ci_u32_e32 v8, vcc_lo, v6, v8, vcc_lo
	s_wait_alu 0xf1ff
	v_subrev_co_ci_u32_e64 v10, s2, 0, v10, s2
	s_delay_alu instid0(VALU_DEP_3) | instskip(NEXT) | instid1(VALU_DEP_3)
	v_cmp_le_u32_e32 vcc_lo, s24, v13
	v_cmp_eq_u32_e64 s2, s25, v8
	s_wait_alu 0xfffd
	v_cndmask_b32_e64 v13, 0, -1, vcc_lo
	v_cmp_le_u32_e32 vcc_lo, s25, v10
	s_wait_alu 0xfffd
	v_cndmask_b32_e64 v14, 0, -1, vcc_lo
	v_cmp_le_u32_e32 vcc_lo, s24, v7
	;; [unrolled: 3-line block ×3, first 2 shown]
	s_wait_alu 0xfffd
	v_cndmask_b32_e64 v15, 0, -1, vcc_lo
	v_cmp_eq_u32_e32 vcc_lo, s25, v10
	s_wait_alu 0xf1ff
	s_delay_alu instid0(VALU_DEP_2)
	v_cndmask_b32_e64 v7, v15, v7, s2
	s_wait_alu 0xfffd
	v_cndmask_b32_e32 v10, v14, v13, vcc_lo
	v_add_co_u32 v13, vcc_lo, v4, 1
	s_wait_alu 0xfffd
	v_add_co_ci_u32_e32 v14, vcc_lo, 0, v9, vcc_lo
	s_delay_alu instid0(VALU_DEP_3) | instskip(SKIP_1) | instid1(VALU_DEP_2)
	v_cmp_ne_u32_e32 vcc_lo, 0, v10
	s_wait_alu 0xfffd
	v_cndmask_b32_e32 v8, v14, v12, vcc_lo
	v_cndmask_b32_e32 v10, v13, v11, vcc_lo
	v_cmp_ne_u32_e32 vcc_lo, 0, v7
	s_wait_alu 0xfffd
	s_delay_alu instid0(VALU_DEP_2)
	v_dual_cndmask_b32 v47, v9, v8 :: v_dual_cndmask_b32 v46, v4, v10
.LBB0_4:                                ;   in Loop: Header=BB0_2 Depth=1
	s_wait_alu 0xfffe
	s_and_not1_saveexec_b32 s2, s26
	s_cbranch_execz .LBB0_6
; %bb.5:                                ;   in Loop: Header=BB0_2 Depth=1
	v_cvt_f32_u32_e32 v4, s24
	s_sub_co_i32 s26, 0, s24
	v_mov_b32_e32 v47, v3
	s_delay_alu instid0(VALU_DEP_2) | instskip(NEXT) | instid1(TRANS32_DEP_1)
	v_rcp_iflag_f32_e32 v4, v4
	v_mul_f32_e32 v4, 0x4f7ffffe, v4
	s_delay_alu instid0(VALU_DEP_1) | instskip(SKIP_1) | instid1(VALU_DEP_1)
	v_cvt_u32_f32_e32 v4, v4
	s_wait_alu 0xfffe
	v_mul_lo_u32 v7, s26, v4
	s_delay_alu instid0(VALU_DEP_1) | instskip(NEXT) | instid1(VALU_DEP_1)
	v_mul_hi_u32 v7, v4, v7
	v_add_nc_u32_e32 v4, v4, v7
	s_delay_alu instid0(VALU_DEP_1) | instskip(NEXT) | instid1(VALU_DEP_1)
	v_mul_hi_u32 v4, v5, v4
	v_mul_lo_u32 v7, v4, s24
	v_add_nc_u32_e32 v8, 1, v4
	s_delay_alu instid0(VALU_DEP_2) | instskip(NEXT) | instid1(VALU_DEP_1)
	v_sub_nc_u32_e32 v7, v5, v7
	v_subrev_nc_u32_e32 v9, s24, v7
	v_cmp_le_u32_e32 vcc_lo, s24, v7
	s_wait_alu 0xfffd
	s_delay_alu instid0(VALU_DEP_2) | instskip(NEXT) | instid1(VALU_DEP_1)
	v_dual_cndmask_b32 v7, v7, v9 :: v_dual_cndmask_b32 v4, v4, v8
	v_cmp_le_u32_e32 vcc_lo, s24, v7
	s_delay_alu instid0(VALU_DEP_2) | instskip(SKIP_1) | instid1(VALU_DEP_1)
	v_add_nc_u32_e32 v8, 1, v4
	s_wait_alu 0xfffd
	v_cndmask_b32_e32 v46, v4, v8, vcc_lo
.LBB0_6:                                ;   in Loop: Header=BB0_2 Depth=1
	s_wait_alu 0xfffe
	s_or_b32 exec_lo, exec_lo, s2
	v_mul_lo_u32 v4, v47, s24
	s_delay_alu instid0(VALU_DEP_2)
	v_mul_lo_u32 v9, v46, s25
	s_load_b64 s[26:27], s[18:19], 0x0
	v_mad_co_u64_u32 v[7:8], null, v46, s24, 0
	s_load_b64 s[24:25], s[16:17], 0x0
	s_add_nc_u64 s[20:21], s[20:21], 1
	s_add_nc_u64 s[16:17], s[16:17], 8
	s_wait_alu 0xfffe
	v_cmp_ge_u64_e64 s2, s[20:21], s[10:11]
	s_add_nc_u64 s[18:19], s[18:19], 8
	s_add_nc_u64 s[22:23], s[22:23], 8
	v_add3_u32 v4, v8, v9, v4
	v_sub_co_u32 v5, vcc_lo, v5, v7
	s_wait_alu 0xfffd
	s_delay_alu instid0(VALU_DEP_2) | instskip(SKIP_2) | instid1(VALU_DEP_1)
	v_sub_co_ci_u32_e32 v4, vcc_lo, v6, v4, vcc_lo
	s_and_b32 vcc_lo, exec_lo, s2
	s_wait_kmcnt 0x0
	v_mul_lo_u32 v6, s26, v4
	v_mul_lo_u32 v7, s27, v5
	v_mad_co_u64_u32 v[1:2], null, s26, v5, v[1:2]
	v_mul_lo_u32 v4, s24, v4
	v_mul_lo_u32 v8, s25, v5
	v_mad_co_u64_u32 v[40:41], null, s24, v5, v[40:41]
	s_delay_alu instid0(VALU_DEP_4) | instskip(NEXT) | instid1(VALU_DEP_2)
	v_add3_u32 v2, v7, v2, v6
	v_add3_u32 v41, v8, v41, v4
	s_wait_alu 0xfffe
	s_cbranch_vccnz .LBB0_9
; %bb.7:                                ;   in Loop: Header=BB0_2 Depth=1
	v_dual_mov_b32 v5, v46 :: v_dual_mov_b32 v6, v47
	s_branch .LBB0_2
.LBB0_8:
	v_dual_mov_b32 v41, v2 :: v_dual_mov_b32 v40, v1
	v_dual_mov_b32 v47, v6 :: v_dual_mov_b32 v46, v5
.LBB0_9:
	s_load_b64 s[0:1], s[0:1], 0x28
	v_mul_hi_u32 v3, 0x147ae15, v0
	s_lshl_b64 s[10:11], s[10:11], 3
                                        ; implicit-def: $vgpr42
                                        ; implicit-def: $vgpr44
                                        ; implicit-def: $vgpr50
                                        ; implicit-def: $vgpr48
                                        ; implicit-def: $vgpr49
	s_wait_kmcnt 0x0
	v_cmp_gt_u64_e32 vcc_lo, s[0:1], v[46:47]
	v_cmp_le_u64_e64 s0, s[0:1], v[46:47]
	s_delay_alu instid0(VALU_DEP_1)
	s_and_saveexec_b32 s1, s0
	s_wait_alu 0xfffe
	s_xor_b32 s0, exec_lo, s1
; %bb.10:
	v_mul_u32_u24_e32 v1, 0xc8, v3
                                        ; implicit-def: $vgpr3
	s_delay_alu instid0(VALU_DEP_1) | instskip(NEXT) | instid1(VALU_DEP_1)
	v_sub_nc_u32_e32 v42, v0, v1
                                        ; implicit-def: $vgpr0
                                        ; implicit-def: $vgpr1_vgpr2
	v_add_nc_u32_e32 v44, 0xc8, v42
	v_add_nc_u32_e32 v50, 0x190, v42
	;; [unrolled: 1-line block ×4, first 2 shown]
; %bb.11:
	s_wait_alu 0xfffe
	s_or_saveexec_b32 s1, s0
	s_add_nc_u64 s[2:3], s[14:15], s[10:11]
	s_wait_alu 0xfffe
	s_xor_b32 exec_lo, exec_lo, s1
	s_cbranch_execz .LBB0_13
; %bb.12:
	s_add_nc_u64 s[10:11], s[12:13], s[10:11]
	v_lshlrev_b64_e32 v[1:2], 4, v[1:2]
	s_load_b64 s[10:11], s[10:11], 0x0
	s_wait_kmcnt 0x0
	v_mul_lo_u32 v6, s11, v46
	v_mul_lo_u32 v7, s10, v47
	v_mad_co_u64_u32 v[4:5], null, s10, v46, 0
	s_delay_alu instid0(VALU_DEP_1) | instskip(SKIP_1) | instid1(VALU_DEP_2)
	v_add3_u32 v5, v5, v7, v6
	v_mul_u32_u24_e32 v6, 0xc8, v3
	v_lshlrev_b64_e32 v[3:4], 4, v[4:5]
	s_delay_alu instid0(VALU_DEP_2) | instskip(NEXT) | instid1(VALU_DEP_1)
	v_sub_nc_u32_e32 v42, v0, v6
	v_lshlrev_b32_e32 v45, 4, v42
	s_delay_alu instid0(VALU_DEP_3) | instskip(SKIP_1) | instid1(VALU_DEP_4)
	v_add_co_u32 v0, s0, s4, v3
	s_wait_alu 0xf1ff
	v_add_co_ci_u32_e64 v3, s0, s5, v4, s0
	v_add_nc_u32_e32 v50, 0x190, v42
	s_delay_alu instid0(VALU_DEP_3) | instskip(SKIP_1) | instid1(VALU_DEP_3)
	v_add_co_u32 v0, s0, v0, v1
	s_wait_alu 0xf1ff
	v_add_co_ci_u32_e64 v1, s0, v3, v2, s0
	v_add_nc_u32_e32 v49, 0x258, v42
	s_delay_alu instid0(VALU_DEP_3) | instskip(SKIP_1) | instid1(VALU_DEP_3)
	v_add_co_u32 v43, s0, v0, v45
	s_wait_alu 0xf1ff
	v_add_co_ci_u32_e64 v44, s0, 0, v1, s0
	s_clause 0x13
	global_load_b128 v[0:3], v[43:44], off offset:3200
	global_load_b128 v[4:7], v[43:44], off offset:6400
	;; [unrolled: 1-line block ×18, first 2 shown]
	global_load_b128 v[83:86], v[43:44], off
	global_load_b128 v[87:90], v[43:44], off offset:60800
	v_add_nc_u32_e32 v43, 0, v45
	v_add_nc_u32_e32 v44, 0xc8, v42
	;; [unrolled: 1-line block ×3, first 2 shown]
	s_wait_loadcnt 0x13
	ds_store_b128 v43, v[0:3] offset:3200
	s_wait_loadcnt 0x12
	ds_store_b128 v43, v[4:7] offset:6400
	;; [unrolled: 2-line block ×18, first 2 shown]
	s_wait_loadcnt 0x1
	ds_store_b128 v43, v[83:86]
	s_wait_loadcnt 0x0
	ds_store_b128 v43, v[87:90] offset:60800
.LBB0_13:
	s_or_b32 exec_lo, exec_lo, s1
	v_lshlrev_b32_e32 v43, 4, v42
	s_load_b64 s[2:3], s[2:3], 0x0
	global_wb scope:SCOPE_SE
	s_wait_dscnt 0x0
	s_wait_kmcnt 0x0
	s_barrier_signal -1
	s_barrier_wait -1
	v_add_nc_u32_e32 v173, 0, v43
	global_inv scope:SCOPE_SE
	s_mov_b32 s4, 0x134454ff
	s_mov_b32 s5, 0x3fee6f0e
	;; [unrolled: 1-line block ×3, first 2 shown]
	ds_load_b128 v[4:7], v173 offset:32000
	ds_load_b128 v[0:3], v173 offset:44800
	ds_load_b128 v[8:11], v173
	ds_load_b128 v[12:15], v173 offset:12800
	ds_load_b128 v[16:19], v173 offset:19200
	;; [unrolled: 1-line block ×17, first 2 shown]
	s_wait_alu 0xfffe
	s_mov_b32 s10, s4
	s_mov_b32 s12, 0x4755a5e
	;; [unrolled: 1-line block ×9, first 2 shown]
	v_and_b32_e32 v45, 0xff, v42
	global_wb scope:SCOPE_SE
	s_wait_dscnt 0x0
	s_barrier_signal -1
	s_barrier_wait -1
	global_inv scope:SCOPE_SE
	v_add_f64_e32 v[93:94], v[8:9], v[12:13]
	v_add_f64_e32 v[91:92], v[4:5], v[0:1]
	;; [unrolled: 1-line block ×10, first 2 shown]
	v_add_f64_e64 v[157:158], v[18:19], -v[22:23]
	v_add_f64_e32 v[101:102], v[24:25], v[16:17]
	v_add_f64_e32 v[103:104], v[26:27], v[18:19]
	;; [unrolled: 1-line block ×8, first 2 shown]
	v_add_f64_e64 v[119:120], v[14:15], -v[57:58]
	v_add_f64_e64 v[121:122], v[38:39], -v[53:54]
	;; [unrolled: 1-line block ×4, first 2 shown]
	v_add_f64_e32 v[131:132], v[75:76], v[79:80]
	v_add_f64_e32 v[133:134], v[32:33], v[83:84]
	;; [unrolled: 1-line block ×4, first 2 shown]
	v_add_f64_e64 v[143:144], v[36:37], -v[51:52]
	v_add_f64_e64 v[147:148], v[14:15], -v[38:39]
	;; [unrolled: 1-line block ×6, first 2 shown]
	v_add_f64_e32 v[159:160], v[87:88], v[63:64]
	v_add_f64_e32 v[161:162], v[89:90], v[65:66]
	v_add_f64_e64 v[163:164], v[4:5], -v[0:1]
	v_add_f64_e64 v[16:17], v[16:17], -v[20:21]
	;; [unrolled: 1-line block ×4, first 2 shown]
	v_fma_f64 v[91:92], v[91:92], -0.5, v[24:25]
	v_add_f64_e64 v[184:185], v[69:70], -v[73:74]
	v_fma_f64 v[97:98], v[97:98], -0.5, v[26:27]
	v_fma_f64 v[24:25], v[99:100], -0.5, v[24:25]
	v_add_f64_e64 v[99:100], v[20:21], -v[0:1]
	v_fma_f64 v[26:27], v[117:118], -0.5, v[26:27]
	;; [unrolled: 3-line block ×3, first 2 shown]
	v_fma_f64 v[137:138], v[139:140], -0.5, v[89:90]
	v_add_f64_e32 v[36:37], v[93:94], v[36:37]
	v_add_f64_e32 v[38:39], v[95:96], v[38:39]
	v_add_f64_e64 v[93:94], v[63:64], -v[67:68]
	v_add_f64_e64 v[95:96], v[67:68], -v[63:64]
	;; [unrolled: 1-line block ×3, first 2 shown]
	v_fma_f64 v[89:90], v[145:146], -0.5, v[89:90]
	v_add_f64_e64 v[165:166], v[18:19], -v[6:7]
	v_add_f64_e64 v[18:19], v[6:7], -v[18:19]
	v_add_f64_e64 v[169:170], v[22:23], -v[2:3]
	v_add_f64_e64 v[171:172], v[2:3], -v[22:23]
	v_add_f64_e64 v[174:175], v[77:78], -v[81:82]
	v_add_f64_e64 v[176:177], v[32:33], -v[75:76]
	v_add_f64_e64 v[178:179], v[75:76], -v[32:33]
	v_add_f64_e64 v[117:118], v[34:35], -v[77:78]
	v_add_f64_e64 v[180:181], v[77:78], -v[34:35]
	v_add_f64_e32 v[4:5], v[101:102], v[4:5]
	v_add_f64_e32 v[6:7], v[103:104], v[6:7]
	v_add_f64_e64 v[101:102], v[65:66], -v[69:70]
	v_add_f64_e64 v[65:66], v[69:70], -v[65:66]
	;; [unrolled: 1-line block ×4, first 2 shown]
	v_add_f64_e32 v[75:76], v[105:106], v[75:76]
	v_add_f64_e32 v[77:78], v[107:108], v[77:78]
	v_fma_f64 v[105:106], v[109:110], -0.5, v[8:9]
	v_fma_f64 v[8:9], v[111:112], -0.5, v[8:9]
	;; [unrolled: 1-line block ×4, first 2 shown]
	v_add_f64_e64 v[113:114], v[71:72], -v[59:60]
	v_fma_f64 v[139:140], v[157:158], s[4:5], v[91:92]
	v_fma_f64 v[115:116], v[131:132], -0.5, v[28:29]
	v_fma_f64 v[107:108], v[163:164], s[4:5], v[97:98]
	s_wait_alu 0xfffe
	v_fma_f64 v[109:110], v[151:152], s[10:11], v[24:25]
	v_fma_f64 v[24:25], v[151:152], s[4:5], v[24:25]
	;; [unrolled: 1-line block ×4, first 2 shown]
	v_fma_f64 v[28:29], v[133:134], -0.5, v[28:29]
	v_fma_f64 v[131:132], v[16:17], s[4:5], v[26:27]
	v_fma_f64 v[133:134], v[135:136], -0.5, v[30:31]
	v_fma_f64 v[30:31], v[141:142], -0.5, v[30:31]
	v_add_f64_e64 v[135:136], v[61:62], -v[73:74]
	v_fma_f64 v[141:142], v[182:183], s[4:5], v[127:128]
	v_add_f64_e32 v[67:68], v[159:160], v[67:68]
	v_add_f64_e32 v[69:70], v[161:162], v[69:70]
	v_add_f64_e64 v[159:160], v[73:74], -v[61:62]
	v_add_f64_e32 v[99:100], v[153:154], v[99:100]
	v_fma_f64 v[153:154], v[184:185], s[10:11], v[87:88]
	v_fma_f64 v[161:162], v[186:187], s[4:5], v[137:138]
	;; [unrolled: 1-line block ×3, first 2 shown]
	v_add_f64_e32 v[155:156], v[155:156], v[167:168]
	v_fma_f64 v[127:128], v[182:183], s[10:11], v[127:128]
	v_fma_f64 v[167:168], v[63:64], s[4:5], v[89:90]
	;; [unrolled: 1-line block ×3, first 2 shown]
	v_add_f64_e64 v[12:13], v[12:13], -v[55:56]
	v_fma_f64 v[26:27], v[16:17], s[10:11], v[26:27]
	v_add_f64_e64 v[149:150], v[57:58], -v[53:54]
	v_add_f64_e64 v[34:35], v[34:35], -v[85:86]
	;; [unrolled: 1-line block ×3, first 2 shown]
	v_add_f64_e32 v[18:19], v[18:19], v[171:172]
	v_add_f64_e32 v[165:166], v[165:166], v[169:170]
	v_add_f64_e64 v[169:170], v[53:54], -v[57:58]
	v_add_f64_e32 v[93:94], v[93:94], v[145:146]
	v_fma_f64 v[89:90], v[63:64], s[10:11], v[89:90]
	v_add_f64_e32 v[36:37], v[36:37], v[51:52]
	v_add_f64_e32 v[38:39], v[38:39], v[53:54]
	;; [unrolled: 1-line block ×4, first 2 shown]
	v_fma_f64 v[139:140], v[151:152], s[12:13], v[139:140]
	v_add_f64_e32 v[0:1], v[4:5], v[0:1]
	v_fma_f64 v[107:108], v[16:17], s[14:15], v[107:108]
	v_fma_f64 v[109:110], v[157:158], s[12:13], v[109:110]
	;; [unrolled: 1-line block ×5, first 2 shown]
	v_add_f64_e64 v[125:126], v[55:56], -v[51:52]
	v_fma_f64 v[131:132], v[163:164], s[12:13], v[131:132]
	v_add_f64_e64 v[171:172], v[51:52], -v[55:56]
	v_add_f64_e64 v[157:158], v[83:84], -v[79:80]
	v_add_f64_e32 v[101:102], v[101:102], v[135:136]
	v_fma_f64 v[141:142], v[184:185], s[12:13], v[141:142]
	v_add_f64_e64 v[97:98], v[79:80], -v[83:84]
	v_fma_f64 v[51:52], v[119:120], s[4:5], v[105:106]
	v_add_f64_e32 v[65:66], v[65:66], v[159:160]
	v_add_f64_e32 v[75:76], v[75:76], v[79:80]
	v_fma_f64 v[135:136], v[182:183], s[12:13], v[153:154]
	v_fma_f64 v[113:114], v[63:64], s[14:15], v[161:162]
	v_fma_f64 v[6:7], v[63:64], s[12:13], v[137:138]
	v_add_f64_e64 v[151:152], v[85:86], -v[81:82]
	v_fma_f64 v[53:54], v[184:185], s[14:15], v[127:128]
	v_fma_f64 v[63:64], v[186:187], s[12:13], v[167:168]
	;; [unrolled: 1-line block ×5, first 2 shown]
	v_add_f64_e64 v[145:146], v[81:82], -v[85:86]
	v_add_f64_e32 v[77:78], v[77:78], v[81:82]
	v_add_f64_e32 v[67:68], v[67:68], v[71:72]
	;; [unrolled: 1-line block ×3, first 2 shown]
	v_fma_f64 v[73:74], v[34:35], s[4:5], v[115:116]
	v_fma_f64 v[127:128], v[32:33], s[10:11], v[133:134]
	;; [unrolled: 1-line block ×6, first 2 shown]
	v_add_f64_e32 v[36:37], v[36:37], v[55:56]
	v_fma_f64 v[30:31], v[103:104], s[10:11], v[30:31]
	v_fma_f64 v[87:88], v[99:100], s[16:17], v[139:140]
	v_add_f64_e32 v[38:39], v[38:39], v[57:58]
	v_fma_f64 v[71:72], v[18:19], s[16:17], v[107:108]
	v_fma_f64 v[81:82], v[155:156], s[16:17], v[109:110]
	;; [unrolled: 1-line block ×18, first 2 shown]
	v_add_f64_e32 v[123:124], v[123:124], v[125:126]
	v_fma_f64 v[53:54], v[93:94], s[16:17], v[53:54]
	v_fma_f64 v[55:56], v[101:102], s[16:17], v[63:64]
	;; [unrolled: 1-line block ×3, first 2 shown]
	v_add_f64_e32 v[125:126], v[147:148], v[149:150]
	v_fma_f64 v[51:52], v[121:122], s[12:13], v[51:52]
	v_fma_f64 v[26:27], v[165:166], s[16:17], v[26:27]
	;; [unrolled: 1-line block ×3, first 2 shown]
	v_add_f64_e32 v[79:80], v[129:130], v[171:172]
	v_add_f64_e32 v[14:15], v[14:15], v[169:170]
	v_add_f64_e32 v[129:130], v[176:177], v[157:158]
	v_add_f64_e32 v[117:118], v[117:118], v[151:152]
	v_fma_f64 v[127:128], v[103:104], s[14:15], v[127:128]
	v_fma_f64 v[89:90], v[101:102], s[16:17], v[89:90]
	v_add_f64_e32 v[97:98], v[178:179], v[97:98]
	v_add_f64_e32 v[139:140], v[180:181], v[145:146]
	v_fma_f64 v[137:138], v[32:33], s[14:15], v[137:138]
	v_fma_f64 v[115:116], v[174:175], s[14:15], v[115:116]
	v_mul_f64_e32 v[57:58], s[18:19], v[87:88]
	v_mul_f64_e32 v[63:64], s[14:15], v[87:88]
	;; [unrolled: 1-line block ×4, first 2 shown]
	v_fma_f64 v[95:96], v[119:120], s[12:13], v[107:108]
	v_fma_f64 v[107:108], v[12:13], s[14:15], v[109:110]
	;; [unrolled: 1-line block ×4, first 2 shown]
	v_mul_f64_e32 v[12:13], s[16:17], v[24:25]
	v_mul_f64_e32 v[109:110], s[16:17], v[16:17]
	v_fma_f64 v[18:19], v[121:122], s[14:15], v[18:19]
	v_fma_f64 v[105:106], v[143:144], s[12:13], v[105:106]
	v_mul_f64_e32 v[119:120], s[18:19], v[91:92]
	v_mul_f64_e32 v[121:122], s[18:19], v[99:100]
	;; [unrolled: 1-line block ×4, first 2 shown]
	v_fma_f64 v[131:132], v[34:35], s[12:13], v[131:132]
	v_mul_f64_e32 v[143:144], s[10:11], v[135:136]
	v_mul_f64_e32 v[141:142], s[4:5], v[113:114]
	v_fma_f64 v[103:104], v[103:104], s[12:13], v[133:134]
	v_fma_f64 v[73:74], v[174:175], s[12:13], v[73:74]
	v_mul_f64_e32 v[133:134], s[18:19], v[53:54]
	v_mul_f64_e32 v[145:146], s[18:19], v[55:56]
	v_fma_f64 v[28:29], v[34:35], s[14:15], v[28:29]
	v_fma_f64 v[30:31], v[32:33], s[12:13], v[30:31]
	v_mul_f64_e32 v[32:33], s[16:17], v[4:5]
	v_mul_f64_e32 v[34:35], s[16:17], v[6:7]
	v_add_f64_e32 v[0:1], v[0:1], v[20:21]
	v_add_f64_e32 v[2:3], v[2:3], v[22:23]
	;; [unrolled: 1-line block ×6, first 2 shown]
	v_fma_f64 v[65:66], v[125:126], s[16:17], v[65:66]
	v_mul_lo_u16 v45, 0xcd, v45
	v_lshl_add_u32 v175, v48, 4, 0
	v_lshl_add_u32 v176, v50, 4, 0
	v_fma_f64 v[115:116], v[129:130], s[16:17], v[115:116]
	v_fma_f64 v[67:68], v[26:27], s[12:13], v[57:58]
	;; [unrolled: 1-line block ×10, first 2 shown]
	v_fma_f64 v[12:13], v[16:17], s[4:5], -v[12:13]
	v_fma_f64 v[14:15], v[24:25], s[10:11], -v[109:110]
	v_fma_f64 v[16:17], v[123:124], s[16:17], v[18:19]
	v_fma_f64 v[18:19], v[125:126], s[16:17], v[105:106]
	v_fma_f64 v[24:25], v[99:100], s[12:13], -v[119:120]
	v_fma_f64 v[91:92], v[91:92], s[14:15], -v[121:122]
	v_fma_f64 v[93:94], v[89:90], s[12:13], v[101:102]
	v_fma_f64 v[95:96], v[89:90], s[18:19], v[111:112]
	;; [unrolled: 1-line block ×8, first 2 shown]
	v_fma_f64 v[117:118], v[55:56], s[12:13], -v[133:134]
	v_fma_f64 v[123:124], v[53:54], s[14:15], -v[145:146]
	v_fma_f64 v[99:100], v[129:130], s[16:17], v[73:74]
	v_fma_f64 v[97:98], v[97:98], s[16:17], v[28:29]
	;; [unrolled: 1-line block ×3, first 2 shown]
	v_fma_f64 v[119:120], v[6:7], s[4:5], -v[32:33]
	v_fma_f64 v[121:122], v[4:5], s[10:11], -v[34:35]
	v_add_f64_e32 v[51:52], v[36:37], v[0:1]
	v_add_f64_e32 v[53:54], v[38:39], v[2:3]
	v_add_f64_e64 v[55:56], v[36:37], -v[0:1]
	v_add_f64_e64 v[57:58], v[38:39], -v[2:3]
	v_add_f64_e32 v[4:5], v[20:21], v[59:60]
	v_add_f64_e32 v[6:7], v[22:23], v[61:62]
	v_add_f64_e64 v[0:1], v[20:21], -v[59:60]
	v_add_f64_e64 v[2:3], v[22:23], -v[61:62]
	v_lshrrev_b16 v177, 11, v45
	v_add_f64_e32 v[61:62], v[65:66], v[26:27]
	v_add_f64_e32 v[59:60], v[63:64], v[67:68]
	v_add_f64_e64 v[63:64], v[63:64], -v[67:68]
	v_add_f64_e64 v[65:66], v[65:66], -v[26:27]
	v_add_f64_e32 v[67:68], v[71:72], v[75:76]
	v_add_f64_e32 v[69:70], v[85:86], v[83:84]
	v_add_f64_e64 v[73:74], v[85:86], -v[83:84]
	v_add_f64_e64 v[71:72], v[71:72], -v[75:76]
	;; [unrolled: 1-line block ×4, first 2 shown]
	v_add_f64_e32 v[75:76], v[8:9], v[12:13]
	v_add_f64_e32 v[77:78], v[10:11], v[14:15]
	v_add_f64_e32 v[79:80], v[16:17], v[24:25]
	v_add_f64_e32 v[81:82], v[18:19], v[91:92]
	v_add_f64_e64 v[87:88], v[16:17], -v[24:25]
	v_add_f64_e64 v[89:90], v[18:19], -v[91:92]
	v_add_f64_e32 v[30:31], v[101:102], v[95:96]
	v_add_f64_e64 v[10:11], v[101:102], -v[95:96]
	v_mad_u32_u24 v91, 0x90, v42, v173
	v_add_f64_e32 v[32:33], v[109:110], v[105:106]
	v_add_f64_e32 v[34:35], v[111:112], v[107:108]
	v_add_f64_e64 v[20:21], v[109:110], -v[105:106]
	v_add_f64_e32 v[24:25], v[115:116], v[117:118]
	v_add_f64_e32 v[26:27], v[103:104], v[123:124]
	;; [unrolled: 1-line block ×3, first 2 shown]
	v_add_f64_e64 v[8:9], v[99:100], -v[93:94]
	v_add_f64_e64 v[22:23], v[111:112], -v[107:108]
	v_add_f64_e32 v[36:37], v[97:98], v[119:120]
	v_add_f64_e32 v[38:39], v[113:114], v[121:122]
	v_add_f64_e64 v[12:13], v[97:98], -v[119:120]
	v_add_f64_e64 v[14:15], v[113:114], -v[121:122]
	v_add_f64_e64 v[16:17], v[115:116], -v[117:118]
	v_add_f64_e64 v[18:19], v[103:104], -v[123:124]
	v_mul_i32_i24_e32 v45, 10, v44
	v_cmp_gt_u32_e64 s0, 0x64, v42
	s_mov_b32 s1, exec_lo
	ds_store_b128 v91, v[51:54]
	ds_store_b128 v91, v[59:62] offset:16
	v_mul_lo_u16 v51, v177, 10
	v_lshl_add_u32 v174, v45, 4, 0
	ds_store_b128 v91, v[67:70] offset:32
	ds_store_b128 v91, v[75:78] offset:48
	v_sub_nc_u16 v45, v42, v51
	ds_store_b128 v91, v[79:82] offset:64
	ds_store_b128 v91, v[55:58] offset:80
	;; [unrolled: 1-line block ×6, first 2 shown]
	v_and_b32_e32 v178, 0xff, v45
	ds_store_b128 v174, v[4:7]
	ds_store_b128 v174, v[28:31] offset:16
	ds_store_b128 v174, v[32:35] offset:32
	;; [unrolled: 1-line block ×5, first 2 shown]
	v_mul_u32_u24_e32 v0, 9, v178
	v_and_b32_e32 v51, 0xffff, v44
	ds_store_b128 v174, v[8:11] offset:96
	ds_store_b128 v174, v[20:23] offset:112
	;; [unrolled: 1-line block ×4, first 2 shown]
	global_wb scope:SCOPE_SE
	s_wait_dscnt 0x0
	v_lshlrev_b32_e32 v0, 4, v0
	v_mul_u32_u24_e32 v4, 0xcccd, v51
	s_barrier_signal -1
	s_barrier_wait -1
	global_inv scope:SCOPE_SE
	s_clause 0x1
	global_load_b128 v[24:27], v0, s[8:9] offset:80
	global_load_b128 v[28:31], v0, s[8:9] offset:112
	v_lshrrev_b32_e32 v179, 19, v4
	s_clause 0x1
	global_load_b128 v[4:7], v0, s[8:9] offset:16
	global_load_b128 v[20:23], v0, s[8:9] offset:48
	v_mad_i32_i24 v45, 0xffffff70, v44, v174
	v_mul_lo_u16 v1, v179, 10
	s_delay_alu instid0(VALU_DEP_1) | instskip(NEXT) | instid1(VALU_DEP_1)
	v_sub_nc_u16 v1, v44, v1
	v_and_b32_e32 v180, 0xffff, v1
	s_delay_alu instid0(VALU_DEP_1) | instskip(NEXT) | instid1(VALU_DEP_1)
	v_mul_u32_u24_e32 v1, 9, v180
	v_lshlrev_b32_e32 v1, 4, v1
	s_clause 0xd
	global_load_b128 v[34:37], v1, s[8:9] offset:16
	global_load_b128 v[51:54], v1, s[8:9] offset:48
	;; [unrolled: 1-line block ×12, first 2 shown]
	global_load_b128 v[12:15], v0, s[8:9]
	global_load_b128 v[8:11], v1, s[8:9]
	ds_load_b128 v[67:70], v175
	ds_load_b128 v[71:74], v173 offset:25600
	ds_load_b128 v[91:94], v173 offset:38400
	;; [unrolled: 1-line block ×3, first 2 shown]
	ds_load_b128 v[0:3], v45
	ds_load_b128 v[107:110], v173 offset:16000
	ds_load_b128 v[111:114], v173 offset:28800
	;; [unrolled: 1-line block ×12, first 2 shown]
	ds_load_b128 v[155:158], v176
	s_wait_loadcnt_dscnt 0x110f
	v_mul_f64_e32 v[159:160], v[93:94], v[26:27]
	v_mul_f64_e32 v[26:27], v[91:92], v[26:27]
	s_wait_loadcnt_dscnt 0x100e
	v_mul_f64_e32 v[165:166], v[103:104], v[30:31]
	s_wait_loadcnt 0xf
	v_mul_f64_e32 v[32:33], v[69:70], v[6:7]
	s_wait_loadcnt 0xe
	v_mul_f64_e32 v[38:39], v[73:74], v[22:23]
	v_mul_f64_e32 v[22:23], v[71:72], v[22:23]
	;; [unrolled: 1-line block ×4, first 2 shown]
	s_wait_loadcnt_dscnt 0xd0c
	v_mul_f64_e32 v[167:168], v[109:110], v[36:37]
	v_mul_f64_e32 v[36:37], v[107:108], v[36:37]
	s_wait_loadcnt_dscnt 0xc0b
	v_mul_f64_e32 v[169:170], v[113:114], v[53:54]
	v_mul_f64_e32 v[171:172], v[111:112], v[53:54]
	;; [unrolled: 3-line block ×3, first 2 shown]
	s_wait_loadcnt_dscnt 0xa07
	v_mul_f64_e32 v[183:184], v[129:130], v[61:62]
	s_wait_loadcnt_dscnt 0x906
	v_mul_f64_e32 v[185:186], v[133:134], v[65:66]
	;; [unrolled: 2-line block ×3, first 2 shown]
	v_mul_f64_e32 v[77:78], v[139:140], v[77:78]
	s_wait_loadcnt_dscnt 0x602
	v_mul_f64_e32 v[189:190], v[149:150], v[85:86]
	v_mul_f64_e32 v[85:86], v[147:148], v[85:86]
	;; [unrolled: 1-line block ×3, first 2 shown]
	v_fma_f64 v[30:31], v[91:92], v[24:25], -v[159:160]
	ds_load_b128 v[159:162], v173 offset:60800
	v_fma_f64 v[67:68], v[67:68], v[4:5], -v[32:33]
	v_fma_f64 v[32:33], v[93:94], v[24:25], v[26:27]
	v_mul_f64_e32 v[24:25], v[127:128], v[61:62]
	v_mul_f64_e32 v[61:62], v[145:146], v[81:82]
	;; [unrolled: 1-line block ×3, first 2 shown]
	v_fma_f64 v[71:72], v[71:72], v[20:21], -v[38:39]
	v_fma_f64 v[73:74], v[73:74], v[20:21], v[22:23]
	v_fma_f64 v[22:23], v[105:106], v[28:29], v[165:166]
	s_wait_loadcnt 0x4
	v_mul_f64_e32 v[105:106], v[117:118], v[97:98]
	v_mul_f64_e32 v[97:98], v[115:116], v[97:98]
	v_fma_f64 v[69:70], v[69:70], v[4:5], v[6:7]
	ds_load_b128 v[4:7], v173
	v_fma_f64 v[20:21], v[103:104], v[28:29], -v[163:164]
	s_wait_dscnt 0x3
	v_mul_f64_e32 v[103:104], v[153:154], v[89:90]
	v_mul_f64_e32 v[89:90], v[151:152], v[89:90]
	s_wait_loadcnt 0x0
	v_mul_f64_e32 v[163:164], v[135:136], v[10:11]
	v_fma_f64 v[38:39], v[107:108], v[34:35], -v[167:168]
	v_mul_f64_e32 v[107:108], v[125:126], v[101:102]
	v_mul_f64_e32 v[101:102], v[123:124], v[101:102]
	v_fma_f64 v[53:54], v[109:110], v[34:35], v[36:37]
	v_fma_f64 v[34:35], v[111:112], v[51:52], -v[169:170]
	s_wait_dscnt 0x1
	v_mul_f64_e32 v[109:110], v[161:162], v[18:19]
	v_mul_f64_e32 v[111:112], v[159:160], v[18:19]
	v_fma_f64 v[36:37], v[113:114], v[51:52], v[171:172]
	v_fma_f64 v[26:27], v[119:120], v[55:56], -v[181:182]
	v_fma_f64 v[28:29], v[121:122], v[55:56], v[57:58]
	v_mul_f64_e32 v[113:114], v[157:158], v[14:15]
	v_mul_f64_e32 v[119:120], v[155:156], v[14:15]
	;; [unrolled: 1-line block ×3, first 2 shown]
	v_fma_f64 v[91:92], v[127:128], v[59:60], -v[183:184]
	v_fma_f64 v[18:19], v[131:132], v[63:64], -v[185:186]
	;; [unrolled: 1-line block ×3, first 2 shown]
	v_fma_f64 v[14:15], v[141:142], v[75:76], v[77:78]
	v_fma_f64 v[51:52], v[147:148], v[83:84], -v[189:190]
	v_fma_f64 v[55:56], v[149:150], v[83:84], v[85:86]
	global_wb scope:SCOPE_SE
	s_wait_dscnt 0x0
	s_barrier_signal -1
	s_barrier_wait -1
	v_add_f64_e32 v[149:150], v[4:5], v[67:68]
	global_inv scope:SCOPE_SE
	v_fma_f64 v[93:94], v[129:130], v[59:60], v[24:25]
	v_fma_f64 v[75:76], v[143:144], v[79:80], -v[61:62]
	v_fma_f64 v[77:78], v[145:146], v[79:80], v[81:82]
	v_fma_f64 v[24:25], v[133:134], v[63:64], v[65:66]
	v_add_f64_e64 v[143:144], v[71:72], -v[67:68]
	v_fma_f64 v[61:62], v[115:116], v[95:96], -v[105:106]
	v_fma_f64 v[63:64], v[117:118], v[95:96], v[97:98]
	v_add_f64_e32 v[97:98], v[73:74], v[32:33]
	v_add_f64_e32 v[105:106], v[69:70], v[22:23]
	v_add_f64_e64 v[145:146], v[30:31], -v[20:21]
	v_fma_f64 v[81:82], v[151:152], v[87:88], -v[103:104]
	v_fma_f64 v[79:80], v[153:154], v[87:88], v[89:90]
	v_fma_f64 v[129:130], v[137:138], v[8:9], v[163:164]
	v_add_f64_e32 v[87:88], v[71:72], v[30:31]
	v_fma_f64 v[57:58], v[123:124], v[99:100], -v[107:108]
	v_fma_f64 v[59:60], v[125:126], v[99:100], v[101:102]
	v_add_f64_e32 v[89:90], v[67:68], v[20:21]
	v_add_f64_e64 v[123:124], v[69:70], -v[73:74]
	v_fma_f64 v[65:66], v[159:160], v[16:17], -v[109:110]
	v_fma_f64 v[16:17], v[161:162], v[16:17], v[111:112]
	v_add_f64_e64 v[125:126], v[22:23], -v[32:33]
	v_add_f64_e32 v[109:110], v[34:35], v[26:27]
	v_add_f64_e64 v[183:184], v[53:54], -v[36:37]
	v_fma_f64 v[101:102], v[155:156], v[12:13], -v[113:114]
	v_fma_f64 v[103:104], v[157:158], v[12:13], v[119:120]
	v_fma_f64 v[115:116], v[135:136], v[8:9], -v[121:122]
	v_add_f64_e32 v[113:114], v[36:37], v[28:29]
	v_add_f64_e32 v[85:86], v[91:92], v[18:19]
	;; [unrolled: 1-line block ×4, first 2 shown]
	v_add_f64_e64 v[119:120], v[67:68], -v[71:72]
	v_add_f64_e64 v[121:122], v[20:21], -v[30:31]
	;; [unrolled: 1-line block ×6, first 2 shown]
	v_add_f64_e32 v[12:13], v[2:3], v[53:54]
	v_add_f64_e64 v[163:164], v[38:39], -v[34:35]
	v_add_f64_e32 v[141:142], v[75:76], v[51:52]
	v_add_f64_e32 v[139:140], v[77:78], v[55:56]
	;; [unrolled: 1-line block ×3, first 2 shown]
	v_add_f64_e64 v[83:84], v[77:78], -v[55:56]
	v_add_f64_e64 v[197:198], v[93:94], -v[24:25]
	;; [unrolled: 1-line block ×6, first 2 shown]
	v_add_f64_e32 v[155:156], v[6:7], v[69:70]
	v_add_f64_e32 v[8:9], v[0:1], v[38:39]
	v_add_f64_e64 v[159:160], v[77:78], -v[93:94]
	v_add_f64_e64 v[161:162], v[55:56], -v[24:25]
	v_fma_f64 v[95:96], v[87:88], -0.5, v[4:5]
	v_add_f64_e32 v[169:170], v[61:62], v[57:58]
	v_add_f64_e32 v[167:168], v[63:64], v[59:60]
	v_fma_f64 v[99:100], v[89:90], -0.5, v[4:5]
	v_fma_f64 v[89:90], v[97:98], -0.5, v[6:7]
	v_add_f64_e32 v[185:186], v[81:82], v[65:66]
	v_add_f64_e32 v[171:172], v[79:80], v[16:17]
	v_fma_f64 v[97:98], v[105:106], -0.5, v[6:7]
	v_fma_f64 v[6:7], v[109:110], -0.5, v[0:1]
	v_add_f64_e64 v[109:110], v[63:64], -v[59:60]
	v_add_f64_e64 v[153:154], v[75:76], -v[91:92]
	;; [unrolled: 1-line block ×4, first 2 shown]
	v_fma_f64 v[4:5], v[113:114], -0.5, v[2:3]
	v_fma_f64 v[181:182], v[85:86], -0.5, v[101:102]
	;; [unrolled: 1-line block ×4, first 2 shown]
	v_add_f64_e32 v[2:3], v[123:124], v[125:126]
	v_add_f64_e64 v[111:112], v[79:80], -v[16:17]
	v_add_f64_e64 v[123:124], v[81:82], -v[65:66]
	v_add_f64_e32 v[0:1], v[119:120], v[121:122]
	v_add_f64_e64 v[121:122], v[61:62], -v[57:58]
	v_add_f64_e64 v[131:132], v[18:19], -v[51:52]
	v_add_f64_e32 v[205:206], v[103:104], v[93:94]
	v_add_f64_e32 v[209:210], v[101:102], v[91:92]
	v_fma_f64 v[201:202], v[141:142], -0.5, v[101:102]
	v_fma_f64 v[199:200], v[139:140], -0.5, v[103:104]
	;; [unrolled: 1-line block ×3, first 2 shown]
	v_add_f64_e32 v[93:94], v[183:184], v[187:188]
	v_add_f64_e32 v[101:102], v[143:144], v[145:146]
	;; [unrolled: 1-line block ×3, first 2 shown]
	v_add_f64_e64 v[189:190], v[81:82], -v[61:62]
	v_add_f64_e64 v[191:192], v[65:66], -v[57:58]
	;; [unrolled: 1-line block ×4, first 2 shown]
	v_add_f64_e32 v[113:114], v[133:134], v[137:138]
	v_add_f64_e64 v[125:126], v[36:37], -v[53:54]
	v_add_f64_e32 v[91:92], v[163:164], v[165:166]
	v_add_f64_e64 v[133:134], v[28:29], -v[14:15]
	v_fma_f64 v[169:170], v[169:170], -0.5, v[115:116]
	v_fma_f64 v[213:214], v[167:168], -0.5, v[129:130]
	v_add_f64_e64 v[137:138], v[61:62], -v[81:82]
	v_add_f64_e64 v[141:142], v[57:58], -v[65:66]
	v_fma_f64 v[185:186], v[185:186], -0.5, v[115:116]
	v_fma_f64 v[171:172], v[171:172], -0.5, v[129:130]
	v_add_f64_e64 v[139:140], v[63:64], -v[79:80]
	v_add_f64_e64 v[143:144], v[59:60], -v[16:17]
	v_add_f64_e32 v[119:120], v[159:160], v[161:162]
	v_add_f64_e32 v[155:156], v[155:156], v[73:74]
	;; [unrolled: 1-line block ×4, first 2 shown]
	v_add_f64_e64 v[71:72], v[71:72], -v[30:31]
	v_fma_f64 v[215:216], v[83:84], s[10:11], v[181:182]
	v_fma_f64 v[181:182], v[83:84], s[4:5], v[181:182]
	v_add_f64_e64 v[73:74], v[73:74], -v[32:33]
	v_add_f64_e64 v[69:70], v[69:70], -v[22:23]
	;; [unrolled: 1-line block ×6, first 2 shown]
	v_add_f64_e32 v[105:106], v[127:128], v[131:132]
	v_add_f64_e32 v[127:128], v[115:116], v[81:82]
	;; [unrolled: 1-line block ×3, first 2 shown]
	v_fma_f64 v[187:188], v[197:198], s[4:5], v[201:202]
	v_fma_f64 v[183:184], v[195:196], s[10:11], v[199:200]
	v_fma_f64 v[217:218], v[107:108], s[4:5], v[135:136]
	v_fma_f64 v[219:220], v[107:108], s[10:11], v[135:136]
	v_fma_f64 v[145:146], v[197:198], s[10:11], v[201:202]
	v_fma_f64 v[147:148], v[195:196], s[4:5], v[199:200]
	v_add_f64_e32 v[135:136], v[129:130], v[79:80]
	v_add_f64_e32 v[129:130], v[205:206], v[77:78]
	;; [unrolled: 1-line block ×6, first 2 shown]
	v_add_f64_e64 v[211:212], v[26:27], -v[10:11]
	v_add_f64_e32 v[125:126], v[125:126], v[133:134]
	v_fma_f64 v[163:164], v[111:112], s[4:5], v[169:170]
	v_fma_f64 v[167:168], v[123:124], s[10:11], v[213:214]
	;; [unrolled: 1-line block ×8, first 2 shown]
	v_add_f64_e32 v[133:134], v[137:138], v[141:142]
	v_add_f64_e32 v[139:140], v[139:140], v[143:144]
	;; [unrolled: 1-line block ×4, first 2 shown]
	v_lshrrev_b16 v186, 2, v44
	v_fma_f64 v[77:78], v[197:198], s[12:13], v[215:216]
	v_fma_f64 v[75:76], v[197:198], s[14:15], v[181:182]
	v_add_nc_u32_e32 v181, 0xffffff9c, v42
	s_delay_alu instid0(VALU_DEP_4)
	v_and_b32_e32 v186, 0xffff, v186
	v_fma_f64 v[155:156], v[53:54], s[4:5], v[6:7]
	v_fma_f64 v[6:7], v[53:54], s[10:11], v[6:7]
	s_wait_alu 0xf1ff
	v_cndmask_b32_e64 v181, v181, v42, s0
	v_add_f64_e32 v[61:62], v[127:128], v[61:62]
	v_fma_f64 v[127:128], v[73:74], s[10:11], v[99:100]
	v_fma_f64 v[99:100], v[73:74], s[4:5], v[99:100]
	;; [unrolled: 1-line block ×8, first 2 shown]
	v_add_f64_e64 v[145:146], v[36:37], -v[28:29]
	v_add_f64_e64 v[147:148], v[34:35], -v[26:27]
	v_add_f64_e32 v[63:64], v[135:136], v[63:64]
	v_add_f64_e32 v[34:35], v[131:132], v[51:52]
	;; [unrolled: 1-line block ×3, first 2 shown]
	v_fma_f64 v[51:52], v[69:70], s[4:5], v[95:96]
	v_fma_f64 v[55:56], v[67:68], s[10:11], v[89:90]
	;; [unrolled: 1-line block ×14, first 2 shown]
	v_add_f64_e32 v[8:9], v[8:9], v[26:27]
	v_fma_f64 v[77:78], v[117:118], s[16:17], v[77:78]
	v_fma_f64 v[75:76], v[117:118], s[16:17], v[75:76]
	v_add_f64_e32 v[12:13], v[12:13], v[28:29]
	v_add_f64_e32 v[30:31], v[30:31], v[20:21]
	;; [unrolled: 1-line block ×4, first 2 shown]
	v_mov_b32_e32 v20, 0
	v_add_f64_e32 v[26:27], v[61:62], v[57:58]
	v_fma_f64 v[131:132], v[113:114], s[16:17], v[182:183]
	v_fma_f64 v[151:152], v[105:106], s[16:17], v[184:185]
	;; [unrolled: 1-line block ×12, first 2 shown]
	v_add_f64_e32 v[28:29], v[63:64], v[59:60]
	v_fma_f64 v[32:33], v[73:74], s[12:13], v[51:52]
	v_fma_f64 v[113:114], v[115:116], s[16:17], v[137:138]
	;; [unrolled: 1-line block ×15, first 2 shown]
	v_mul_f64_e32 v[95:96], s[10:11], v[77:78]
	v_mul_f64_e32 v[97:98], s[16:17], v[75:76]
	v_fma_f64 v[71:72], v[71:72], s[12:13], v[89:90]
	v_fma_f64 v[89:90], v[145:146], s[12:13], v[155:156]
	;; [unrolled: 1-line block ×3, first 2 shown]
	v_add_f64_e32 v[34:35], v[34:35], v[18:19]
	v_add_f64_e32 v[23:24], v[36:37], v[24:25]
	v_add_f64_e32 v[14:15], v[12:13], v[14:15]
	v_add_f64_e32 v[12:13], v[26:27], v[65:66]
	v_add_f64_e32 v[36:37], v[8:9], v[10:11]
	v_mul_f64_e32 v[61:62], s[12:13], v[131:132]
	v_mul_f64_e32 v[63:64], s[14:15], v[151:152]
	;; [unrolled: 1-line block ×6, first 2 shown]
	v_fma_f64 v[115:116], v[147:148], s[14:15], v[119:120]
	v_fma_f64 v[119:120], v[53:54], s[12:13], v[149:150]
	;; [unrolled: 1-line block ×6, first 2 shown]
	v_add_f64_e32 v[16:17], v[28:29], v[16:17]
	v_fma_f64 v[25:26], v[0:1], s[16:17], v[32:33]
	v_mul_f64_e32 v[85:86], s[12:13], v[113:114]
	v_mul_f64_e32 v[129:130], s[14:15], v[137:138]
	;; [unrolled: 1-line block ×8, first 2 shown]
	v_fma_f64 v[27:28], v[2:3], s[16:17], v[51:52]
	v_fma_f64 v[51:52], v[101:102], s[16:17], v[55:56]
	;; [unrolled: 1-line block ×4, first 2 shown]
	v_mul_i32_i24_e32 v19, 9, v181
	v_mul_u32_u24_e32 v18, 0x147b, v186
	v_fma_f64 v[101:102], v[91:92], s[16:17], v[6:7]
	v_add_f64_e64 v[6:7], v[21:22], -v[23:24]
	v_add_f64_e32 v[8:9], v[36:37], v[12:13]
	v_fma_f64 v[32:33], v[151:152], s[18:19], v[61:62]
	v_fma_f64 v[59:60], v[131:132], s[18:19], v[63:64]
	;; [unrolled: 1-line block ×5, first 2 shown]
	v_fma_f64 v[73:74], v[117:118], s[4:5], -v[97:98]
	v_fma_f64 v[75:76], v[75:76], s[10:11], -v[99:100]
	v_fma_f64 v[63:64], v[0:1], s[16:17], v[69:70]
	v_fma_f64 v[69:70], v[2:3], s[16:17], v[71:72]
	v_fma_f64 v[95:96], v[105:106], s[12:13], -v[121:122]
	v_fma_f64 v[83:84], v[83:84], s[14:15], -v[127:128]
	v_fma_f64 v[71:72], v[91:92], s[16:17], v[89:90]
	v_fma_f64 v[77:78], v[93:94], s[16:17], v[115:116]
	;; [unrolled: 1-line block ×11, first 2 shown]
	v_fma_f64 v[93:94], v[123:124], s[4:5], -v[139:140]
	v_fma_f64 v[105:106], v[111:112], s[10:11], -v[143:144]
	v_fma_f64 v[107:108], v[109:110], s[12:13], -v[145:146]
	v_fma_f64 v[109:110], v[81:82], s[14:15], -v[147:148]
	v_add_f64_e32 v[0:1], v[30:31], v[34:35]
	v_add_f64_e32 v[2:3], v[21:22], v[23:24]
	v_add_f64_e64 v[4:5], v[30:31], -v[34:35]
	v_add_f64_e64 v[12:13], v[36:37], -v[12:13]
	v_add_f64_e32 v[10:11], v[14:15], v[16:17]
	v_add_f64_e64 v[14:15], v[14:15], -v[16:17]
	v_and_b32_e32 v37, 0xffff, v177
	v_lshlrev_b64_e32 v[16:17], 4, v[19:20]
	v_mul_u32_u24_e32 v19, 0x640, v179
	v_add_f64_e32 v[21:22], v[25:26], v[32:33]
	v_add_f64_e32 v[23:24], v[27:28], v[59:60]
	v_add_f64_e64 v[25:26], v[25:26], -v[32:33]
	v_add_f64_e32 v[29:30], v[51:52], v[65:66]
	v_add_f64_e32 v[31:32], v[55:56], v[67:68]
	v_add_f64_e64 v[33:34], v[51:52], -v[65:66]
	;; [unrolled: 3-line block ×3, first 2 shown]
	v_add_f64_e64 v[35:36], v[55:56], -v[67:68]
	v_add_f64_e64 v[55:56], v[57:58], -v[73:74]
	;; [unrolled: 1-line block ×3, first 2 shown]
	v_add_f64_e32 v[59:60], v[63:64], v[95:96]
	v_add_f64_e32 v[61:62], v[69:70], v[83:84]
	v_add_f64_e64 v[63:64], v[63:64], -v[95:96]
	v_add_f64_e64 v[65:66], v[69:70], -v[83:84]
	v_add_f64_e32 v[67:68], v[71:72], v[79:80]
	v_add_f64_e32 v[69:70], v[77:78], v[85:86]
	v_add_f64_e64 v[73:74], v[77:78], -v[85:86]
	v_add_f64_e32 v[75:76], v[89:90], v[87:88]
	v_add_f64_e32 v[77:78], v[97:98], v[91:92]
	;; [unrolled: 3-line block ×4, first 2 shown]
	v_add_f64_e64 v[81:82], v[97:98], -v[91:92]
	v_add_f64_e64 v[91:92], v[99:100], -v[93:94]
	v_add_f64_e64 v[93:94], v[38:39], -v[105:106]
	v_add_f64_e64 v[95:96], v[101:102], -v[107:108]
	v_add_f64_e64 v[97:98], v[103:104], -v[109:110]
	v_lshrrev_b32_e32 v39, 17, v18
	v_mul_u32_u24_e32 v18, 0x640, v37
	v_lshlrev_b32_e32 v99, 4, v178
	v_lshlrev_b32_e32 v100, 4, v180
	v_add_co_u32 v37, s0, s8, v16
	s_wait_alu 0xf1ff
	v_add_co_ci_u32_e64 v38, s0, s9, v17, s0
	v_add3_u32 v16, 0, v18, v99
	v_add3_u32 v17, 0, v19, v100
	ds_store_b128 v16, v[0:3]
	ds_store_b128 v16, v[21:24] offset:160
	ds_store_b128 v16, v[29:32] offset:320
	;; [unrolled: 1-line block ×9, first 2 shown]
	ds_store_b128 v17, v[8:11]
	ds_store_b128 v17, v[67:70] offset:160
	ds_store_b128 v17, v[75:78] offset:320
	ds_store_b128 v17, v[83:86] offset:480
	ds_store_b128 v17, v[87:90] offset:640
	ds_store_b128 v17, v[12:15] offset:800
	ds_store_b128 v17, v[71:74] offset:960
	ds_store_b128 v17, v[79:82] offset:1120
	ds_store_b128 v17, v[91:94] offset:1280
	ds_store_b128 v17, v[95:98] offset:1440
	v_mul_lo_u16 v0, 0x64, v39
	global_wb scope:SCOPE_SE
	s_wait_dscnt 0x0
	s_barrier_signal -1
	s_barrier_wait -1
	global_inv scope:SCOPE_SE
	s_clause 0x3
	global_load_b128 v[4:7], v[37:38], off offset:1456
	global_load_b128 v[21:24], v[37:38], off offset:1472
	;; [unrolled: 1-line block ×4, first 2 shown]
	v_sub_nc_u16 v0, v44, v0
	global_load_b128 v[55:58], v[37:38], off offset:1552
	v_cmp_lt_u32_e64 s0, 0x63, v42
	v_and_b32_e32 v89, 0xffff, v0
	s_delay_alu instid0(VALU_DEP_1) | instskip(NEXT) | instid1(VALU_DEP_1)
	v_mul_u32_u24_e32 v0, 9, v89
	v_lshlrev_b32_e32 v0, 4, v0
	s_clause 0xc
	global_load_b128 v[59:62], v0, s[8:9] offset:1456
	global_load_b128 v[63:66], v0, s[8:9] offset:1488
	global_load_b128 v[71:74], v[37:38], off offset:1568
	global_load_b128 v[75:78], v0, s[8:9] offset:1520
	global_load_b128 v[79:82], v0, s[8:9] offset:1552
	global_load_b128 v[90:93], v[37:38], off offset:1504
	global_load_b128 v[94:97], v[37:38], off offset:1536
	global_load_b128 v[98:101], v0, s[8:9] offset:1472
	global_load_b128 v[102:105], v0, s[8:9] offset:1504
	;; [unrolled: 1-line block ×4, first 2 shown]
	global_load_b128 v[12:15], v[37:38], off offset:1440
	global_load_b128 v[8:11], v0, s[8:9] offset:1440
	ds_load_b128 v[35:38], v175
	ds_load_b128 v[51:54], v173 offset:19200
	ds_load_b128 v[67:70], v173 offset:25600
	;; [unrolled: 1-line block ×3, first 2 shown]
	ds_load_b128 v[0:3], v45
	ds_load_b128 v[114:117], v173 offset:51200
	ds_load_b128 v[118:121], v173 offset:22400
	;; [unrolled: 1-line block ×13, first 2 shown]
	ds_load_b128 v[166:169], v176
	s_wait_loadcnt_dscnt 0x1112
	v_mul_f64_e32 v[33:34], v[37:38], v[6:7]
	v_mul_f64_e32 v[6:7], v[35:36], v[6:7]
	s_wait_loadcnt_dscnt 0x1011
	v_mul_f64_e32 v[83:84], v[53:54], v[23:24]
	v_mul_f64_e32 v[23:24], v[51:52], v[23:24]
	s_wait_loadcnt_dscnt 0xf10
	v_mul_f64_e32 v[87:88], v[69:70], v[27:28]
	s_wait_loadcnt_dscnt 0xe0f
	v_mul_f64_e32 v[170:171], v[112:113], v[31:32]
	v_mul_f64_e32 v[27:28], v[67:68], v[27:28]
	s_wait_loadcnt_dscnt 0xd0d
	v_mul_f64_e32 v[179:180], v[116:117], v[57:58]
	v_mul_f64_e32 v[177:178], v[110:111], v[31:32]
	;; [unrolled: 1-line block ×3, first 2 shown]
	s_wait_loadcnt_dscnt 0xc0b
	v_mul_f64_e32 v[182:183], v[124:125], v[61:62]
	v_mul_f64_e32 v[61:62], v[122:123], v[61:62]
	s_wait_loadcnt_dscnt 0xa08
	v_mul_f64_e32 v[186:187], v[136:137], v[73:74]
	v_mul_f64_e32 v[73:74], v[134:135], v[73:74]
	;; [unrolled: 1-line block ×4, first 2 shown]
	s_wait_loadcnt_dscnt 0x806
	v_mul_f64_e32 v[188:189], v[144:145], v[81:82]
	v_mul_f64_e32 v[81:82], v[142:143], v[81:82]
	v_fma_f64 v[35:36], v[35:36], v[4:5], -v[33:34]
	v_fma_f64 v[37:38], v[37:38], v[4:5], v[6:7]
	v_fma_f64 v[83:84], v[51:52], v[21:22], -v[83:84]
	v_fma_f64 v[85:86], v[53:54], v[21:22], v[23:24]
	s_wait_dscnt 0x4
	v_mul_f64_e32 v[21:22], v[152:153], v[77:78]
	v_mul_f64_e32 v[77:78], v[150:151], v[77:78]
	v_fma_f64 v[51:52], v[67:68], v[25:26], -v[87:88]
	v_fma_f64 v[31:32], v[110:111], v[29:30], -v[170:171]
	s_wait_loadcnt_dscnt 0x602
	v_mul_f64_e32 v[110:111], v[160:161], v[96:97]
	v_mul_f64_e32 v[96:97], v[158:159], v[96:97]
	ds_load_b128 v[4:7], v173
	v_mul_f64_e32 v[87:88], v[156:157], v[92:93]
	v_mul_f64_e32 v[92:93], v[154:155], v[92:93]
	v_fma_f64 v[53:54], v[69:70], v[25:26], v[27:28]
	v_fma_f64 v[23:24], v[114:115], v[55:56], -v[179:180]
	s_wait_loadcnt 0x4
	v_mul_f64_e32 v[114:115], v[132:133], v[104:105]
	v_fma_f64 v[67:68], v[122:123], v[59:60], -v[182:183]
	v_fma_f64 v[69:70], v[124:125], v[59:60], v[61:62]
	v_mul_f64_e32 v[59:60], v[130:131], v[104:105]
	s_wait_loadcnt 0x3
	v_mul_f64_e32 v[61:62], v[140:141], v[108:109]
	v_mul_f64_e32 v[104:105], v[138:139], v[108:109]
	v_fma_f64 v[33:34], v[112:113], v[29:30], v[177:178]
	v_fma_f64 v[25:26], v[116:117], v[55:56], v[57:58]
	v_mul_f64_e32 v[112:113], v[120:121], v[100:101]
	v_mul_f64_e32 v[100:101], v[118:119], v[100:101]
	s_wait_loadcnt_dscnt 0x202
	v_mul_f64_e32 v[108:109], v[164:165], v[18:19]
	v_mul_f64_e32 v[116:117], v[162:163], v[18:19]
	s_wait_loadcnt_dscnt 0x101
	v_mul_f64_e32 v[122:123], v[168:169], v[14:15]
	v_mul_f64_e32 v[124:125], v[166:167], v[14:15]
	v_fma_f64 v[14:15], v[134:135], v[71:72], -v[186:187]
	v_fma_f64 v[18:19], v[136:137], v[71:72], v[73:74]
	v_fma_f64 v[55:56], v[126:127], v[63:64], -v[184:185]
	v_fma_f64 v[57:58], v[128:129], v[63:64], v[65:66]
	s_wait_loadcnt 0x0
	v_mul_f64_e32 v[126:127], v[148:149], v[10:11]
	v_mul_f64_e32 v[128:129], v[146:147], v[10:11]
	v_fma_f64 v[10:11], v[142:143], v[79:80], -v[188:189]
	global_wb scope:SCOPE_SE
	s_wait_dscnt 0x0
	s_barrier_signal -1
	s_barrier_wait -1
	v_add_f64_e32 v[134:135], v[6:7], v[37:38]
	global_inv scope:SCOPE_SE
	v_fma_f64 v[27:28], v[150:151], v[75:76], -v[21:22]
	v_fma_f64 v[29:30], v[152:153], v[75:76], v[77:78]
	v_fma_f64 v[21:22], v[144:145], v[79:80], v[81:82]
	v_add_f64_e64 v[142:143], v[51:52], -v[35:36]
	v_fma_f64 v[63:64], v[158:159], v[94:95], -v[110:111]
	v_fma_f64 v[65:66], v[160:161], v[94:95], v[96:97]
	v_add_f64_e32 v[94:95], v[51:52], v[31:32]
	v_fma_f64 v[75:76], v[154:155], v[90:91], -v[87:88]
	v_fma_f64 v[77:78], v[156:157], v[90:91], v[92:93]
	v_add_f64_e64 v[144:145], v[31:32], -v[23:24]
	v_fma_f64 v[71:72], v[130:131], v[102:103], -v[114:115]
	v_add_f64_e64 v[114:115], v[35:36], -v[51:52]
	v_add_f64_e32 v[130:131], v[4:5], v[35:36]
	v_fma_f64 v[73:74], v[132:133], v[102:103], v[59:60]
	v_fma_f64 v[59:60], v[138:139], v[106:107], -v[61:62]
	v_fma_f64 v[61:62], v[140:141], v[106:107], v[104:105]
	v_add_f64_e32 v[138:139], v[0:1], v[67:68]
	v_add_f64_e32 v[104:105], v[37:38], v[25:26]
	v_fma_f64 v[81:82], v[118:119], v[98:99], -v[112:113]
	v_fma_f64 v[79:80], v[120:121], v[98:99], v[100:101]
	v_fma_f64 v[87:88], v[162:163], v[16:17], -v[108:109]
	v_fma_f64 v[16:17], v[164:165], v[16:17], v[116:117]
	;; [unrolled: 2-line block ×3, first 2 shown]
	v_add_f64_e32 v[96:97], v[83:84], v[14:15]
	v_add_f64_e32 v[102:103], v[85:86], v[18:19]
	;; [unrolled: 1-line block ×4, first 2 shown]
	v_fma_f64 v[92:93], v[146:147], v[8:9], -v[126:127]
	v_fma_f64 v[8:9], v[148:149], v[8:9], v[128:129]
	v_add_f64_e32 v[108:109], v[67:68], v[10:11]
	v_add_f64_e64 v[146:147], v[53:54], -v[37:38]
	v_add_f64_e64 v[148:149], v[33:34], -v[25:26]
	;; [unrolled: 1-line block ×6, first 2 shown]
	v_add_f64_e32 v[106:107], v[55:56], v[27:28]
	v_add_f64_e32 v[110:111], v[57:58], v[29:30]
	;; [unrolled: 1-line block ×3, first 2 shown]
	v_add_f64_e64 v[164:165], v[21:22], -v[29:30]
	v_add_f64_e64 v[124:125], v[14:15], -v[63:64]
	;; [unrolled: 1-line block ×4, first 2 shown]
	v_add_f64_e32 v[136:137], v[75:76], v[63:64]
	v_add_f64_e32 v[132:133], v[77:78], v[65:66]
	v_add_f64_e64 v[122:123], v[83:84], -v[75:76]
	v_add_f64_e64 v[150:151], v[75:76], -v[83:84]
	;; [unrolled: 1-line block ×6, first 2 shown]
	v_add_f64_e32 v[168:169], v[71:72], v[59:60]
	v_add_f64_e32 v[170:171], v[73:74], v[61:62]
	v_fma_f64 v[94:95], v[94:95], -0.5, v[4:5]
	v_add_f64_e32 v[142:143], v[142:143], v[144:145]
	v_add_f64_e64 v[182:183], v[81:82], -v[71:72]
	v_add_f64_e32 v[140:141], v[2:3], v[69:70]
	v_add_f64_e32 v[184:185], v[81:82], v[87:88]
	;; [unrolled: 1-line block ×3, first 2 shown]
	v_add_f64_e64 v[144:145], v[81:82], -v[87:88]
	v_add_f64_e64 v[156:157], v[65:66], -v[18:19]
	v_fma_f64 v[96:97], v[96:97], -0.5, v[90:91]
	v_fma_f64 v[102:103], v[102:103], -0.5, v[12:13]
	;; [unrolled: 1-line block ×4, first 2 shown]
	v_add_f64_e64 v[100:101], v[87:88], -v[59:60]
	v_fma_f64 v[6:7], v[104:105], -0.5, v[6:7]
	v_add_f64_e64 v[104:105], v[79:80], -v[73:74]
	v_add_f64_e32 v[130:131], v[130:131], v[51:52]
	v_add_f64_e32 v[146:147], v[146:147], v[148:149]
	;; [unrolled: 1-line block ×3, first 2 shown]
	v_add_f64_e64 v[116:117], v[27:28], -v[10:11]
	v_add_f64_e32 v[118:119], v[118:119], v[120:121]
	v_add_f64_e64 v[120:121], v[73:74], -v[61:62]
	v_fma_f64 v[106:107], v[106:107], -0.5, v[0:1]
	v_fma_f64 v[0:1], v[108:109], -0.5, v[0:1]
	;; [unrolled: 1-line block ×3, first 2 shown]
	v_add_f64_e64 v[110:111], v[16:17], -v[61:62]
	v_fma_f64 v[2:3], v[112:113], -0.5, v[2:3]
	v_add_f64_e64 v[112:113], v[55:56], -v[67:68]
	v_add_f64_e32 v[162:163], v[162:163], v[164:165]
	v_fma_f64 v[136:137], v[136:137], -0.5, v[90:91]
	v_fma_f64 v[132:133], v[132:133], -0.5, v[12:13]
	v_add_f64_e32 v[12:13], v[12:13], v[85:86]
	v_add_f64_e32 v[90:91], v[90:91], v[83:84]
	v_add_f64_e64 v[83:84], v[83:84], -v[14:15]
	v_add_f64_e64 v[85:86], v[85:86], -v[18:19]
	v_add_f64_e32 v[122:123], v[122:123], v[124:125]
	v_add_f64_e64 v[124:125], v[79:80], -v[16:17]
	v_add_f64_e32 v[148:149], v[150:151], v[152:153]
	v_fma_f64 v[150:151], v[168:169], -0.5, v[92:93]
	v_fma_f64 v[152:153], v[170:171], -0.5, v[8:9]
	v_add_f64_e32 v[126:127], v[126:127], v[128:129]
	v_add_f64_e64 v[128:129], v[71:72], -v[59:60]
	v_add_f64_e32 v[134:135], v[134:135], v[53:54]
	v_fma_f64 v[184:185], v[184:185], -0.5, v[92:93]
	v_fma_f64 v[170:171], v[179:180], -0.5, v[8:9]
	v_add_f64_e32 v[92:93], v[92:93], v[81:82]
	v_add_f64_e64 v[81:82], v[71:72], -v[81:82]
	v_fma_f64 v[168:169], v[166:167], s[10:11], v[96:97]
	v_fma_f64 v[96:97], v[166:167], s[4:5], v[96:97]
	;; [unrolled: 1-line block ×4, first 2 shown]
	v_add_f64_e32 v[100:101], v[182:183], v[100:101]
	v_add_f64_e32 v[8:9], v[8:9], v[79:80]
	v_add_f64_e64 v[79:80], v[73:74], -v[79:80]
	v_add_f64_e64 v[37:38], v[37:38], -v[25:26]
	;; [unrolled: 1-line block ×5, first 2 shown]
	v_add_f64_e32 v[154:155], v[154:155], v[156:157]
	v_add_f64_e64 v[158:159], v[67:68], -v[55:56]
	v_add_f64_e64 v[156:157], v[57:58], -v[69:70]
	;; [unrolled: 1-line block ×4, first 2 shown]
	v_add_f64_e32 v[104:105], v[104:105], v[110:111]
	v_add_f64_e64 v[110:111], v[59:60], -v[87:88]
	v_add_f64_e32 v[112:113], v[112:113], v[116:117]
	v_add_f64_e64 v[116:117], v[61:62], -v[16:17]
	v_add_f64_e64 v[160:161], v[10:11], -v[27:28]
	v_add_f64_e32 v[31:32], v[130:131], v[31:32]
	v_add_f64_e32 v[12:13], v[12:13], v[77:78]
	;; [unrolled: 1-line block ×3, first 2 shown]
	v_fma_f64 v[164:165], v[83:84], s[10:11], v[132:133]
	v_fma_f64 v[182:183], v[85:86], s[4:5], v[136:137]
	;; [unrolled: 1-line block ×8, first 2 shown]
	v_add_f64_e32 v[33:34], v[134:135], v[33:34]
	v_add_f64_e32 v[71:72], v[92:93], v[71:72]
	v_fma_f64 v[168:169], v[85:86], s[12:13], v[168:169]
	v_fma_f64 v[85:86], v[85:86], s[14:15], v[96:97]
	;; [unrolled: 1-line block ×8, first 2 shown]
	v_add_f64_e32 v[8:9], v[8:9], v[73:74]
	v_add_f64_e32 v[81:82], v[81:82], v[110:111]
	;; [unrolled: 1-line block ×4, first 2 shown]
	v_add_f64_e64 v[160:161], v[29:30], -v[21:22]
	v_add_f64_e32 v[12:13], v[12:13], v[65:66]
	v_add_f64_e32 v[63:64], v[75:76], v[63:64]
	v_fma_f64 v[164:165], v[177:178], s[14:15], v[164:165]
	v_fma_f64 v[182:183], v[166:167], s[12:13], v[182:183]
	;; [unrolled: 1-line block ×4, first 2 shown]
	v_add_f64_e64 v[166:167], v[57:58], -v[29:30]
	v_fma_f64 v[90:91], v[120:121], s[12:13], v[90:91]
	v_fma_f64 v[110:111], v[128:129], s[14:15], v[132:133]
	v_add_f64_e64 v[177:178], v[55:56], -v[27:28]
	v_fma_f64 v[116:117], v[120:121], s[14:15], v[150:151]
	v_fma_f64 v[120:121], v[128:129], s[12:13], v[152:153]
	v_add_f64_e32 v[55:56], v[138:139], v[55:56]
	v_add_f64_e32 v[57:58], v[140:141], v[57:58]
	v_fma_f64 v[65:66], v[37:38], s[4:5], v[94:95]
	v_fma_f64 v[75:76], v[35:36], s[10:11], v[98:99]
	;; [unrolled: 1-line block ×20, first 2 shown]
	v_add_f64_e32 v[8:9], v[8:9], v[61:62]
	v_add_f64_e32 v[23:24], v[31:32], v[23:24]
	;; [unrolled: 1-line block ×6, first 2 shown]
	v_fma_f64 v[130:131], v[126:127], s[16:17], v[164:165]
	v_fma_f64 v[132:133], v[122:123], s[16:17], v[182:183]
	;; [unrolled: 1-line block ×10, first 2 shown]
	v_add_f64_e32 v[27:28], v[55:56], v[27:28]
	v_add_f64_e32 v[29:30], v[57:58], v[29:30]
	v_add_f64_e32 v[55:56], v[71:72], v[59:60]
	v_fma_f64 v[31:32], v[53:54], s[12:13], v[65:66]
	v_fma_f64 v[33:34], v[51:52], s[14:15], v[75:76]
	;; [unrolled: 1-line block ×13, first 2 shown]
	v_mul_f64_e32 v[53:54], s[4:5], v[134:135]
	v_mul_f64_e32 v[65:66], s[10:11], v[138:139]
	;; [unrolled: 1-line block ×4, first 2 shown]
	v_fma_f64 v[51:52], v[51:52], s[12:13], v[98:99]
	v_fma_f64 v[71:72], v[166:167], s[12:13], v[140:141]
	;; [unrolled: 1-line block ×4, first 2 shown]
	v_add_f64_e32 v[16:17], v[8:9], v[16:17]
	v_mul_f64_e32 v[37:38], s[12:13], v[130:131]
	v_mul_f64_e32 v[61:62], s[14:15], v[132:133]
	;; [unrolled: 1-line block ×4, first 2 shown]
	v_fma_f64 v[102:103], v[69:70], s[12:13], v[148:149]
	v_fma_f64 v[0:1], v[69:70], s[14:15], v[0:1]
	v_mul_f64_e32 v[69:70], s[12:13], v[110:111]
	v_mul_f64_e32 v[124:125], s[14:15], v[90:91]
	v_fma_f64 v[120:121], v[67:68], s[14:15], v[126:127]
	v_fma_f64 v[2:3], v[67:68], s[12:13], v[2:3]
	;; [unrolled: 1-line block ×3, first 2 shown]
	v_add_f64_e32 v[18:19], v[27:28], v[10:11]
	v_add_f64_e32 v[21:22], v[29:30], v[21:22]
	v_add_f64_e32 v[27:28], v[55:56], v[87:88]
	v_fma_f64 v[29:30], v[114:115], s[16:17], v[31:32]
	v_fma_f64 v[31:32], v[118:119], s[16:17], v[33:34]
	v_mul_f64_e32 v[106:107], s[4:5], v[73:74]
	v_fma_f64 v[55:56], v[146:147], s[16:17], v[59:60]
	v_fma_f64 v[63:64], v[114:115], s[16:17], v[35:36]
	v_mul_f64_e32 v[126:127], s[10:11], v[96:97]
	v_mul_f64_e32 v[128:129], s[16:17], v[81:82]
	;; [unrolled: 1-line block ×5, first 2 shown]
	v_fma_f64 v[33:34], v[142:143], s[16:17], v[57:58]
	v_fma_f64 v[57:58], v[142:143], s[16:17], v[4:5]
	v_fma_f64 v[35:36], v[138:139], s[16:17], v[53:54]
	v_fma_f64 v[53:54], v[134:135], s[16:17], v[65:66]
	v_fma_f64 v[75:76], v[83:84], s[4:5], -v[75:76]
	v_fma_f64 v[83:84], v[85:86], s[10:11], -v[94:95]
	v_fma_f64 v[65:66], v[118:119], s[16:17], v[51:52]
	v_fma_f64 v[71:72], v[158:159], s[16:17], v[71:72]
	;; [unrolled: 1-line block ×4, first 2 shown]
	v_add_f64_e64 v[4:5], v[23:24], -v[14:15]
	v_fma_f64 v[37:38], v[132:133], s[18:19], v[37:38]
	v_fma_f64 v[59:60], v[130:131], s[18:19], v[61:62]
	;; [unrolled: 1-line block ×3, first 2 shown]
	v_fma_f64 v[77:78], v[77:78], s[12:13], -v[104:105]
	v_fma_f64 v[94:95], v[122:123], s[14:15], -v[116:117]
	v_fma_f64 v[87:88], v[112:113], s[16:17], v[102:103]
	v_fma_f64 v[90:91], v[90:91], s[18:19], v[69:70]
	;; [unrolled: 1-line block ×7, first 2 shown]
	v_add_f64_e32 v[0:1], v[23:24], v[14:15]
	v_add_f64_e32 v[2:3], v[25:26], v[12:13]
	;; [unrolled: 1-line block ×3, first 2 shown]
	v_add_f64_e64 v[14:15], v[21:22], -v[16:17]
	v_fma_f64 v[96:97], v[96:97], s[16:17], v[106:107]
	v_add_f64_e64 v[6:7], v[25:26], -v[12:13]
	v_add_f64_e32 v[8:9], v[18:19], v[27:28]
	v_fma_f64 v[106:107], v[73:74], s[16:17], v[126:127]
	v_fma_f64 v[114:115], v[79:80], s[4:5], -v[128:129]
	v_fma_f64 v[116:117], v[81:82], s[10:11], -v[136:137]
	;; [unrolled: 1-line block ×4, first 2 shown]
	v_add_f64_e64 v[12:13], v[18:19], -v[27:28]
	v_mul_u32_u24_e32 v16, 3, v42
	s_wait_alu 0xf1ff
	v_cndmask_b32_e64 v17, 0, 0x3e80, s0
	v_lshlrev_b32_e32 v18, 4, v181
	v_add_f64_e32 v[51:52], v[57:58], v[75:76]
	v_mul_i32_i24_e32 v19, 3, v44
	v_add_f64_e32 v[21:22], v[29:30], v[37:38]
	v_add_f64_e32 v[23:24], v[31:32], v[59:60]
	v_add_f64_e64 v[25:26], v[29:30], -v[37:38]
	v_add_f64_e64 v[27:28], v[31:32], -v[59:60]
	v_add_f64_e32 v[29:30], v[33:34], v[35:36]
	v_add_f64_e32 v[31:32], v[55:56], v[53:54]
	v_add_f64_e64 v[33:34], v[33:34], -v[35:36]
	v_add_f64_e64 v[35:36], v[55:56], -v[53:54]
	v_add_f64_e32 v[53:54], v[61:62], v[83:84]
	v_add_f64_e64 v[55:56], v[57:58], -v[75:76]
	v_add_f64_e64 v[57:58], v[61:62], -v[83:84]
	v_add_f64_e32 v[59:60], v[63:64], v[77:78]
	v_add_f64_e32 v[61:62], v[65:66], v[94:95]
	v_add_f64_e64 v[63:64], v[63:64], -v[77:78]
	v_add_f64_e64 v[65:66], v[65:66], -v[94:95]
	v_add_f64_e32 v[67:68], v[71:72], v[90:91]
	v_add_f64_e32 v[69:70], v[85:86], v[104:105]
	;; [unrolled: 1-line block ×3, first 2 shown]
	v_add_f64_e64 v[73:74], v[85:86], -v[104:105]
	v_add_f64_e32 v[77:78], v[98:99], v[106:107]
	v_add_f64_e32 v[83:84], v[102:103], v[114:115]
	;; [unrolled: 1-line block ×3, first 2 shown]
	v_add_f64_e64 v[71:72], v[71:72], -v[90:91]
	v_add_f64_e32 v[90:91], v[112:113], v[100:101]
	v_add_f64_e32 v[92:93], v[108:109], v[118:119]
	v_add_f64_e64 v[79:80], v[87:88], -v[96:97]
	v_add_f64_e64 v[81:82], v[98:99], -v[106:107]
	;; [unrolled: 1-line block ×6, first 2 shown]
	v_mul_u32_u24_e32 v37, 0x3e80, v39
	v_lshlrev_b32_e32 v38, 4, v89
	v_lshlrev_b32_e32 v39, 4, v16
	v_add3_u32 v16, 0, v17, v18
	s_delay_alu instid0(VALU_DEP_3)
	v_add3_u32 v17, 0, v37, v38
	ds_store_b128 v16, v[0:3]
	ds_store_b128 v16, v[21:24] offset:1600
	ds_store_b128 v16, v[29:32] offset:3200
	;; [unrolled: 1-line block ×9, first 2 shown]
	ds_store_b128 v17, v[8:11]
	ds_store_b128 v17, v[67:70] offset:1600
	ds_store_b128 v17, v[75:78] offset:3200
	;; [unrolled: 1-line block ×9, first 2 shown]
	global_wb scope:SCOPE_SE
	s_wait_dscnt 0x0
	s_barrier_signal -1
	s_barrier_wait -1
	global_inv scope:SCOPE_SE
	s_clause 0x1
	global_load_b128 v[0:3], v39, s[8:9] offset:15840
	global_load_b128 v[4:7], v39, s[8:9] offset:15856
	v_lshlrev_b64_e32 v[8:9], 4, v[19:20]
	v_mul_i32_i24_e32 v19, 3, v50
	s_delay_alu instid0(VALU_DEP_1) | instskip(SKIP_1) | instid1(VALU_DEP_4)
	v_lshlrev_b64_e32 v[10:11], 4, v[19:20]
	v_mul_i32_i24_e32 v19, 3, v49
	v_add_co_u32 v16, s0, s8, v8
	s_wait_alu 0xf1ff
	v_add_co_ci_u32_e64 v17, s0, s9, v9, s0
	s_delay_alu instid0(VALU_DEP_3) | instskip(SKIP_4) | instid1(VALU_DEP_3)
	v_lshlrev_b64_e32 v[29:30], 4, v[19:20]
	v_mul_i32_i24_e32 v19, 3, v48
	v_add_co_u32 v33, s0, s8, v10
	s_wait_alu 0xf1ff
	v_add_co_ci_u32_e64 v34, s0, s9, v11, s0
	v_lshlrev_b64_e32 v[59:60], 4, v[19:20]
	s_clause 0x3
	global_load_b128 v[8:11], v39, s[8:9] offset:15872
	global_load_b128 v[12:15], v[16:17], off offset:15840
	global_load_b128 v[21:24], v[16:17], off offset:15856
	;; [unrolled: 1-line block ×3, first 2 shown]
	v_add_co_u32 v37, s0, s8, v29
	s_wait_alu 0xf1ff
	v_add_co_ci_u32_e64 v38, s0, s9, v30, s0
	global_load_b128 v[29:32], v[33:34], off offset:15840
	v_add_co_u32 v71, s0, s8, v59
	s_clause 0x3
	global_load_b128 v[16:19], v[33:34], off offset:15856
	global_load_b128 v[33:36], v[33:34], off offset:15872
	;; [unrolled: 1-line block ×4, first 2 shown]
	s_wait_alu 0xf1ff
	v_add_co_ci_u32_e64 v72, s0, s9, v60, s0
	s_clause 0x3
	global_load_b128 v[59:62], v[37:38], off offset:15872
	global_load_b128 v[63:66], v[71:72], off offset:15840
	global_load_b128 v[67:70], v[71:72], off offset:15856
	global_load_b128 v[71:74], v[71:72], off offset:15872
	ds_load_b128 v[75:78], v173 offset:16000
	ds_load_b128 v[79:82], v173 offset:32000
	;; [unrolled: 1-line block ×15, first 2 shown]
	ds_load_b128 v[135:138], v173
	s_wait_loadcnt_dscnt 0xe0f
	v_mul_f64_e32 v[37:38], v[77:78], v[2:3]
	v_mul_f64_e32 v[2:3], v[75:76], v[2:3]
	s_wait_loadcnt_dscnt 0xd0e
	v_mul_f64_e32 v[139:140], v[81:82], v[6:7]
	v_mul_f64_e32 v[6:7], v[79:80], v[6:7]
	s_wait_loadcnt_dscnt 0xc0c
	v_mul_f64_e32 v[141:142], v[89:90], v[10:11]
	v_mul_f64_e32 v[10:11], v[87:88], v[10:11]
	s_wait_loadcnt 0xb
	v_mul_f64_e32 v[143:144], v[85:86], v[14:15]
	v_mul_f64_e32 v[14:15], v[83:84], v[14:15]
	s_wait_loadcnt_dscnt 0xa0b
	v_mul_f64_e32 v[145:146], v[93:94], v[23:24]
	v_mul_f64_e32 v[23:24], v[91:92], v[23:24]
	s_wait_loadcnt_dscnt 0x90a
	v_mul_f64_e32 v[147:148], v[97:98], v[27:28]
	v_mul_f64_e32 v[27:28], v[95:96], v[27:28]
	s_wait_loadcnt_dscnt 0x809
	v_mul_f64_e32 v[149:150], v[101:102], v[31:32]
	v_mul_f64_e32 v[31:32], v[99:100], v[31:32]
	s_wait_loadcnt_dscnt 0x707
	v_mul_f64_e32 v[151:152], v[109:110], v[18:19]
	v_mul_f64_e32 v[18:19], v[107:108], v[18:19]
	s_wait_loadcnt_dscnt 0x606
	v_mul_f64_e32 v[153:154], v[113:114], v[35:36]
	v_mul_f64_e32 v[35:36], v[111:112], v[35:36]
	s_wait_loadcnt_dscnt 0x505
	v_mul_f64_e32 v[155:156], v[117:118], v[53:54]
	v_mul_f64_e32 v[53:54], v[115:116], v[53:54]
	s_wait_loadcnt_dscnt 0x403
	v_mul_f64_e32 v[157:158], v[125:126], v[57:58]
	v_mul_f64_e32 v[57:58], v[123:124], v[57:58]
	s_wait_loadcnt 0x3
	v_mul_f64_e32 v[159:160], v[121:122], v[61:62]
	v_fma_f64 v[37:38], v[75:76], v[0:1], -v[37:38]
	v_fma_f64 v[75:76], v[77:78], v[0:1], v[2:3]
	v_mul_f64_e32 v[0:1], v[119:120], v[61:62]
	s_wait_loadcnt 0x2
	v_mul_f64_e32 v[2:3], v[105:106], v[65:66]
	v_mul_f64_e32 v[61:62], v[103:104], v[65:66]
	s_wait_loadcnt_dscnt 0x102
	v_mul_f64_e32 v[65:66], v[129:130], v[69:70]
	v_fma_f64 v[77:78], v[79:80], v[4:5], -v[139:140]
	v_fma_f64 v[79:80], v[81:82], v[4:5], v[6:7]
	v_mul_f64_e32 v[4:5], v[127:128], v[69:70]
	s_wait_loadcnt_dscnt 0x1
	v_mul_f64_e32 v[6:7], v[133:134], v[73:74]
	v_mul_f64_e32 v[69:70], v[131:132], v[73:74]
	v_fma_f64 v[73:74], v[87:88], v[8:9], -v[141:142]
	v_fma_f64 v[81:82], v[89:90], v[8:9], v[10:11]
	v_fma_f64 v[83:84], v[83:84], v[12:13], -v[143:144]
	v_fma_f64 v[12:13], v[85:86], v[12:13], v[14:15]
	;; [unrolled: 2-line block ×9, first 2 shown]
	v_fma_f64 v[57:58], v[119:120], v[59:60], -v[159:160]
	v_lshl_add_u32 v14, v49, 4, 0
	v_fma_f64 v[59:60], v[121:122], v[59:60], v[0:1]
	v_fma_f64 v[91:92], v[103:104], v[63:64], -v[2:3]
	v_fma_f64 v[61:62], v[105:106], v[63:64], v[61:62]
	v_fma_f64 v[63:64], v[127:128], v[67:68], -v[65:66]
	ds_load_b128 v[0:3], v45
	v_fma_f64 v[65:66], v[129:130], v[67:68], v[4:5]
	v_fma_f64 v[67:68], v[131:132], v[71:72], -v[6:7]
	v_fma_f64 v[69:70], v[133:134], v[71:72], v[69:70]
	ds_load_b128 v[4:7], v176
	ds_load_b128 v[8:11], v14
	;; [unrolled: 1-line block ×3, first 2 shown]
	s_wait_dscnt 0x4
	v_add_f64_e64 v[71:72], v[135:136], -v[77:78]
	v_add_f64_e64 v[77:78], v[137:138], -v[79:80]
	global_wb scope:SCOPE_SE
	s_wait_dscnt 0x0
	s_barrier_signal -1
	s_barrier_wait -1
	global_inv scope:SCOPE_SE
	v_add_f64_e64 v[73:74], v[37:38], -v[73:74]
	v_add_f64_e64 v[79:80], v[75:76], -v[81:82]
	;; [unrolled: 1-line block ×18, first 2 shown]
	v_fma_f64 v[65:66], v[135:136], 2.0, -v[71:72]
	v_fma_f64 v[69:70], v[137:138], 2.0, -v[77:78]
	;; [unrolled: 1-line block ×15, first 2 shown]
	v_add_f64_e64 v[0:1], v[71:72], -v[79:80]
	v_add_f64_e32 v[2:3], v[77:78], v[73:74]
	v_add_f64_e64 v[4:5], v[81:82], -v[23:24]
	v_fma_f64 v[51:52], v[51:52], 2.0, -v[53:54]
	v_add_f64_e32 v[6:7], v[85:86], v[21:22]
	v_add_f64_e64 v[21:22], v[93:94], -v[31:32]
	v_fma_f64 v[109:110], v[15:16], 2.0, -v[97:98]
	v_add_f64_e32 v[23:24], v[87:88], v[25:26]
	v_add_f64_e32 v[31:32], v[95:96], v[33:34]
	v_fma_f64 v[111:112], v[17:18], 2.0, -v[99:100]
	v_fma_f64 v[67:68], v[91:92], 2.0, -v[55:56]
	;; [unrolled: 1-line block ×3, first 2 shown]
	v_add_f64_e64 v[8:9], v[65:66], -v[37:38]
	v_add_f64_e64 v[10:11], v[69:70], -v[59:60]
	;; [unrolled: 1-line block ×4, first 2 shown]
                                        ; implicit-def: $vgpr12_vgpr13
	v_add_f64_e64 v[25:26], v[83:84], -v[27:28]
	v_add_f64_e64 v[27:28], v[103:104], -v[29:30]
	;; [unrolled: 1-line block ×3, first 2 shown]
	v_add_f64_e32 v[53:54], v[99:100], v[55:56]
	v_add_f64_e64 v[33:34], v[105:106], -v[35:36]
	v_fma_f64 v[59:60], v[71:72], 2.0, -v[0:1]
	v_fma_f64 v[63:64], v[81:82], 2.0, -v[4:5]
	v_add_f64_e64 v[35:36], v[107:108], -v[51:52]
	v_add_f64_e64 v[51:52], v[97:98], -v[57:58]
	;; [unrolled: 1-line block ×4, first 2 shown]
	v_fma_f64 v[61:62], v[77:78], 2.0, -v[2:3]
	v_fma_f64 v[77:78], v[87:88], 2.0, -v[23:24]
	;; [unrolled: 1-line block ×18, first 2 shown]
	ds_store_b128 v173, v[59:62] offset:16000
	ds_store_b128 v173, v[8:11] offset:32000
	ds_store_b128 v173, v[0:3] offset:48000
	ds_store_b128 v173, v[67:70]
	ds_store_b128 v45, v[63:66] offset:16000
	ds_store_b128 v45, v[15:18] offset:32000
	ds_store_b128 v45, v[71:74]
	ds_store_b128 v45, v[4:7] offset:48000
	ds_store_b128 v176, v[75:78] offset:16000
	ds_store_b128 v176, v[25:28] offset:32000
	ds_store_b128 v176, v[79:82]
	ds_store_b128 v176, v[21:24] offset:48000
	;; [unrolled: 4-line block ×4, first 2 shown]
	global_wb scope:SCOPE_SE
	s_wait_dscnt 0x0
	s_barrier_signal -1
	s_barrier_wait -1
	global_inv scope:SCOPE_SE
	ds_load_b128 v[4:7], v173
	v_sub_nc_u32_e32 v15, 0, v43
                                        ; implicit-def: $vgpr0_vgpr1
                                        ; implicit-def: $vgpr10_vgpr11
                                        ; implicit-def: $vgpr8_vgpr9
	v_cmpx_ne_u32_e32 0, v42
	s_wait_alu 0xfffe
	s_xor_b32 s1, exec_lo, s1
	s_cbranch_execz .LBB0_15
; %bb.14:
	v_mov_b32_e32 v43, v20
	s_delay_alu instid0(VALU_DEP_1) | instskip(NEXT) | instid1(VALU_DEP_1)
	v_lshlrev_b64_e32 v[0:1], 4, v[42:43]
	v_add_co_u32 v0, s0, s8, v0
	s_wait_alu 0xf1ff
	s_delay_alu instid0(VALU_DEP_2)
	v_add_co_ci_u32_e64 v1, s0, s9, v1, s0
	global_load_b128 v[8:11], v[0:1], off offset:63840
	ds_load_b128 v[0:3], v15 offset:64000
	s_wait_dscnt 0x0
	v_add_f64_e64 v[12:13], v[4:5], -v[0:1]
	v_add_f64_e32 v[16:17], v[6:7], v[2:3]
	v_add_f64_e64 v[2:3], v[6:7], -v[2:3]
	v_add_f64_e32 v[0:1], v[4:5], v[0:1]
	s_delay_alu instid0(VALU_DEP_4) | instskip(NEXT) | instid1(VALU_DEP_4)
	v_mul_f64_e32 v[6:7], 0.5, v[12:13]
	v_mul_f64_e32 v[4:5], 0.5, v[16:17]
	s_delay_alu instid0(VALU_DEP_4) | instskip(SKIP_1) | instid1(VALU_DEP_3)
	v_mul_f64_e32 v[2:3], 0.5, v[2:3]
	s_wait_loadcnt 0x0
	v_mul_f64_e32 v[12:13], v[6:7], v[10:11]
	s_delay_alu instid0(VALU_DEP_2) | instskip(SKIP_1) | instid1(VALU_DEP_3)
	v_fma_f64 v[16:17], v[4:5], v[10:11], v[2:3]
	v_fma_f64 v[2:3], v[4:5], v[10:11], -v[2:3]
	v_fma_f64 v[18:19], v[0:1], 0.5, v[12:13]
	v_fma_f64 v[0:1], v[0:1], 0.5, -v[12:13]
	s_delay_alu instid0(VALU_DEP_4) | instskip(NEXT) | instid1(VALU_DEP_4)
	v_fma_f64 v[12:13], -v[8:9], v[6:7], v[16:17]
	v_fma_f64 v[2:3], -v[8:9], v[6:7], v[2:3]
	s_delay_alu instid0(VALU_DEP_4) | instskip(NEXT) | instid1(VALU_DEP_4)
	v_fma_f64 v[10:11], v[4:5], v[8:9], v[18:19]
	v_fma_f64 v[0:1], -v[4:5], v[8:9], v[0:1]
	v_dual_mov_b32 v8, v42 :: v_dual_mov_b32 v9, v43
                                        ; implicit-def: $vgpr4_vgpr5
.LBB0_15:
	s_wait_alu 0xfffe
	s_or_saveexec_b32 s0, s1
	v_mul_i32_i24_e32 v16, 0xffffff70, v44
	s_wait_alu 0xfffe
	s_xor_b32 exec_lo, exec_lo, s0
	s_cbranch_execz .LBB0_17
; %bb.16:
	s_wait_dscnt 0x0
	v_add_f64_e32 v[10:11], v[4:5], v[6:7]
	v_add_f64_e64 v[0:1], v[4:5], -v[6:7]
	v_mov_b32_e32 v6, 0
	v_mov_b32_e32 v12, 0
	v_dual_mov_b32 v13, 0 :: v_dual_mov_b32 v8, 0
	s_delay_alu instid0(VALU_DEP_2)
	v_mov_b32_e32 v2, v12
	ds_load_b64 v[4:5], v6 offset:32008
	v_mov_b32_e32 v9, 0
	v_mov_b32_e32 v3, v13
	s_wait_dscnt 0x0
	v_xor_b32_e32 v5, 0x80000000, v5
	ds_store_b64 v6, v[4:5] offset:32008
.LBB0_17:
	s_or_b32 exec_lo, exec_lo, s0
	v_dual_mov_b32 v45, 0 :: v_dual_add_nc_u32 v16, v174, v16
	s_wait_dscnt 0x0
	s_delay_alu instid0(VALU_DEP_1) | instskip(SKIP_1) | instid1(VALU_DEP_1)
	v_lshlrev_b64_e32 v[4:5], 4, v[44:45]
	v_mov_b32_e32 v51, v45
	v_lshlrev_b64_e32 v[17:18], 4, v[50:51]
	v_mov_b32_e32 v50, v45
	s_delay_alu instid0(VALU_DEP_4) | instskip(SKIP_2) | instid1(VALU_DEP_4)
	v_add_co_u32 v4, s0, s8, v4
	s_wait_alu 0xf1ff
	v_add_co_ci_u32_e64 v5, s0, s9, v5, s0
	v_add_co_u32 v17, s0, s8, v17
	s_wait_alu 0xf1ff
	v_add_co_ci_u32_e64 v18, s0, s9, v18, s0
	s_clause 0x1
	global_load_b128 v[4:7], v[4:5], off offset:63840
	global_load_b128 v[17:20], v[17:18], off offset:63840
	ds_store_2addr_b64 v173, v[10:11], v[12:13] offset1:1
	ds_store_b128 v15, v[0:3] offset:64000
	ds_load_b128 v[0:3], v16
	ds_load_b128 v[10:13], v15 offset:60800
	s_wait_dscnt 0x0
	v_add_f64_e64 v[21:22], v[0:1], -v[10:11]
	v_add_f64_e32 v[23:24], v[2:3], v[12:13]
	v_add_f64_e64 v[2:3], v[2:3], -v[12:13]
	v_add_f64_e32 v[0:1], v[0:1], v[10:11]
	s_delay_alu instid0(VALU_DEP_4) | instskip(NEXT) | instid1(VALU_DEP_4)
	v_mul_f64_e32 v[12:13], 0.5, v[21:22]
	v_mul_f64_e32 v[21:22], 0.5, v[23:24]
	s_delay_alu instid0(VALU_DEP_4) | instskip(SKIP_1) | instid1(VALU_DEP_3)
	v_mul_f64_e32 v[2:3], 0.5, v[2:3]
	s_wait_loadcnt 0x1
	v_mul_f64_e32 v[10:11], v[12:13], v[6:7]
	s_delay_alu instid0(VALU_DEP_2) | instskip(SKIP_1) | instid1(VALU_DEP_3)
	v_fma_f64 v[23:24], v[21:22], v[6:7], v[2:3]
	v_fma_f64 v[2:3], v[21:22], v[6:7], -v[2:3]
	v_fma_f64 v[6:7], v[0:1], 0.5, v[10:11]
	v_fma_f64 v[0:1], v[0:1], 0.5, -v[10:11]
	s_delay_alu instid0(VALU_DEP_4) | instskip(NEXT) | instid1(VALU_DEP_4)
	v_fma_f64 v[10:11], -v[4:5], v[12:13], v[23:24]
	v_fma_f64 v[12:13], -v[4:5], v[12:13], v[2:3]
	s_delay_alu instid0(VALU_DEP_4) | instskip(NEXT) | instid1(VALU_DEP_4)
	v_fma_f64 v[6:7], v[21:22], v[4:5], v[6:7]
	v_fma_f64 v[4:5], -v[21:22], v[4:5], v[0:1]
	v_lshlrev_b64_e32 v[0:1], 4, v[49:50]
	v_mov_b32_e32 v49, v45
	s_delay_alu instid0(VALU_DEP_2) | instskip(SKIP_1) | instid1(VALU_DEP_3)
	v_add_co_u32 v0, s0, s8, v0
	s_wait_alu 0xf1ff
	v_add_co_ci_u32_e64 v1, s0, s9, v1, s0
	global_load_b128 v[0:3], v[0:1], off offset:63840
	ds_store_b64 v16, v[10:11] offset:8
	ds_store_b64 v15, v[12:13] offset:60808
	ds_store_b64 v16, v[6:7]
	ds_store_b64 v15, v[4:5] offset:60800
	ds_load_b128 v[4:7], v176
	ds_load_b128 v[10:13], v15 offset:57600
	s_wait_dscnt 0x0
	v_add_f64_e64 v[21:22], v[4:5], -v[10:11]
	v_add_f64_e32 v[23:24], v[6:7], v[12:13]
	v_add_f64_e64 v[6:7], v[6:7], -v[12:13]
	v_add_f64_e32 v[4:5], v[4:5], v[10:11]
	s_delay_alu instid0(VALU_DEP_4) | instskip(NEXT) | instid1(VALU_DEP_4)
	v_mul_f64_e32 v[12:13], 0.5, v[21:22]
	v_mul_f64_e32 v[21:22], 0.5, v[23:24]
	s_delay_alu instid0(VALU_DEP_4) | instskip(SKIP_1) | instid1(VALU_DEP_3)
	v_mul_f64_e32 v[6:7], 0.5, v[6:7]
	s_wait_loadcnt 0x1
	v_mul_f64_e32 v[10:11], v[12:13], v[19:20]
	s_delay_alu instid0(VALU_DEP_2) | instskip(SKIP_1) | instid1(VALU_DEP_3)
	v_fma_f64 v[23:24], v[21:22], v[19:20], v[6:7]
	v_fma_f64 v[6:7], v[21:22], v[19:20], -v[6:7]
	v_fma_f64 v[19:20], v[4:5], 0.5, v[10:11]
	v_fma_f64 v[4:5], v[4:5], 0.5, -v[10:11]
	s_delay_alu instid0(VALU_DEP_4) | instskip(NEXT) | instid1(VALU_DEP_4)
	v_fma_f64 v[23:24], -v[17:18], v[12:13], v[23:24]
	v_fma_f64 v[6:7], -v[17:18], v[12:13], v[6:7]
	v_lshlrev_b64_e32 v[10:11], 4, v[48:49]
	s_delay_alu instid0(VALU_DEP_1) | instskip(SKIP_1) | instid1(VALU_DEP_2)
	v_add_co_u32 v10, s0, s8, v10
	s_wait_alu 0xf1ff
	v_add_co_ci_u32_e64 v11, s0, s9, v11, s0
	s_add_nc_u64 s[0:1], s[8:9], 0xf960
	global_load_b128 v[10:13], v[10:11], off offset:63840
	v_fma_f64 v[19:20], v[21:22], v[17:18], v[19:20]
	v_fma_f64 v[4:5], -v[21:22], v[17:18], v[4:5]
	ds_store_2addr_b64 v176, v[19:20], v[23:24] offset1:1
	ds_store_b128 v15, v[4:7] offset:57600
	ds_load_b128 v[4:7], v14
	ds_load_b128 v[16:19], v15 offset:54400
	s_wait_dscnt 0x0
	v_add_f64_e64 v[20:21], v[4:5], -v[16:17]
	v_add_f64_e32 v[22:23], v[6:7], v[18:19]
	v_add_f64_e64 v[6:7], v[6:7], -v[18:19]
	v_add_f64_e32 v[4:5], v[4:5], v[16:17]
	s_delay_alu instid0(VALU_DEP_4) | instskip(NEXT) | instid1(VALU_DEP_4)
	v_mul_f64_e32 v[18:19], 0.5, v[20:21]
	v_mul_f64_e32 v[20:21], 0.5, v[22:23]
	s_delay_alu instid0(VALU_DEP_4) | instskip(SKIP_1) | instid1(VALU_DEP_3)
	v_mul_f64_e32 v[6:7], 0.5, v[6:7]
	s_wait_loadcnt 0x1
	v_mul_f64_e32 v[16:17], v[18:19], v[2:3]
	s_delay_alu instid0(VALU_DEP_2) | instskip(SKIP_1) | instid1(VALU_DEP_3)
	v_fma_f64 v[22:23], v[20:21], v[2:3], v[6:7]
	v_fma_f64 v[2:3], v[20:21], v[2:3], -v[6:7]
	v_fma_f64 v[6:7], v[4:5], 0.5, v[16:17]
	v_fma_f64 v[4:5], v[4:5], 0.5, -v[16:17]
	s_delay_alu instid0(VALU_DEP_4) | instskip(NEXT) | instid1(VALU_DEP_4)
	v_fma_f64 v[16:17], -v[0:1], v[18:19], v[22:23]
	v_fma_f64 v[2:3], -v[0:1], v[18:19], v[2:3]
	s_delay_alu instid0(VALU_DEP_4) | instskip(NEXT) | instid1(VALU_DEP_4)
	v_fma_f64 v[18:19], v[20:21], v[0:1], v[6:7]
	v_fma_f64 v[0:1], -v[20:21], v[0:1], v[4:5]
	v_lshlrev_b64_e32 v[4:5], 4, v[8:9]
	s_wait_alu 0xfffe
	s_delay_alu instid0(VALU_DEP_1) | instskip(SKIP_1) | instid1(VALU_DEP_2)
	v_add_co_u32 v20, s0, s0, v4
	s_wait_alu 0xf1ff
	v_add_co_ci_u32_e64 v21, s0, s1, v5, s0
	global_load_b128 v[4:7], v[20:21], off offset:16000
	ds_store_2addr_b64 v14, v[18:19], v[16:17] offset1:1
	ds_store_b128 v15, v[0:3] offset:54400
	v_add_nc_u32_e32 v14, 0x3800, v173
	ds_load_b128 v[0:3], v175
	ds_load_b128 v[16:19], v15 offset:51200
	s_wait_dscnt 0x0
	v_add_f64_e64 v[8:9], v[0:1], -v[16:17]
	v_add_f64_e32 v[22:23], v[2:3], v[18:19]
	v_add_f64_e64 v[2:3], v[2:3], -v[18:19]
	v_add_f64_e32 v[0:1], v[0:1], v[16:17]
	s_delay_alu instid0(VALU_DEP_4) | instskip(NEXT) | instid1(VALU_DEP_4)
	v_mul_f64_e32 v[8:9], 0.5, v[8:9]
	v_mul_f64_e32 v[18:19], 0.5, v[22:23]
	s_delay_alu instid0(VALU_DEP_4) | instskip(SKIP_1) | instid1(VALU_DEP_3)
	v_mul_f64_e32 v[2:3], 0.5, v[2:3]
	s_wait_loadcnt 0x1
	v_mul_f64_e32 v[16:17], v[8:9], v[12:13]
	s_delay_alu instid0(VALU_DEP_2) | instskip(SKIP_1) | instid1(VALU_DEP_3)
	v_fma_f64 v[22:23], v[18:19], v[12:13], v[2:3]
	v_fma_f64 v[2:3], v[18:19], v[12:13], -v[2:3]
	v_fma_f64 v[12:13], v[0:1], 0.5, v[16:17]
	v_fma_f64 v[0:1], v[0:1], 0.5, -v[16:17]
	s_delay_alu instid0(VALU_DEP_4) | instskip(NEXT) | instid1(VALU_DEP_4)
	v_fma_f64 v[16:17], -v[10:11], v[8:9], v[22:23]
	v_fma_f64 v[2:3], -v[10:11], v[8:9], v[2:3]
	s_delay_alu instid0(VALU_DEP_4) | instskip(NEXT) | instid1(VALU_DEP_4)
	v_fma_f64 v[12:13], v[18:19], v[10:11], v[12:13]
	v_fma_f64 v[0:1], -v[18:19], v[10:11], v[0:1]
	global_load_b128 v[8:11], v[20:21], off offset:19200
	ds_store_2addr_b64 v175, v[12:13], v[16:17] offset1:1
	ds_store_b128 v15, v[0:3] offset:51200
	ds_load_b128 v[0:3], v173 offset:16000
	ds_load_b128 v[16:19], v15 offset:48000
	s_wait_dscnt 0x0
	v_add_f64_e64 v[12:13], v[0:1], -v[16:17]
	v_add_f64_e32 v[22:23], v[2:3], v[18:19]
	v_add_f64_e64 v[2:3], v[2:3], -v[18:19]
	v_add_f64_e32 v[0:1], v[0:1], v[16:17]
	s_delay_alu instid0(VALU_DEP_4) | instskip(NEXT) | instid1(VALU_DEP_4)
	v_mul_f64_e32 v[12:13], 0.5, v[12:13]
	v_mul_f64_e32 v[18:19], 0.5, v[22:23]
	s_delay_alu instid0(VALU_DEP_4) | instskip(SKIP_1) | instid1(VALU_DEP_3)
	v_mul_f64_e32 v[2:3], 0.5, v[2:3]
	s_wait_loadcnt 0x1
	v_mul_f64_e32 v[16:17], v[12:13], v[6:7]
	s_delay_alu instid0(VALU_DEP_2) | instskip(SKIP_1) | instid1(VALU_DEP_3)
	v_fma_f64 v[22:23], v[18:19], v[6:7], v[2:3]
	v_fma_f64 v[2:3], v[18:19], v[6:7], -v[2:3]
	v_fma_f64 v[6:7], v[0:1], 0.5, v[16:17]
	v_fma_f64 v[0:1], v[0:1], 0.5, -v[16:17]
	s_delay_alu instid0(VALU_DEP_4) | instskip(NEXT) | instid1(VALU_DEP_4)
	v_fma_f64 v[16:17], -v[4:5], v[12:13], v[22:23]
	v_fma_f64 v[2:3], -v[4:5], v[12:13], v[2:3]
	s_delay_alu instid0(VALU_DEP_4) | instskip(NEXT) | instid1(VALU_DEP_4)
	v_fma_f64 v[12:13], v[18:19], v[4:5], v[6:7]
	v_fma_f64 v[0:1], -v[18:19], v[4:5], v[0:1]
	global_load_b128 v[4:7], v[20:21], off offset:22400
	ds_store_2addr_b64 v14, v[12:13], v[16:17] offset0:208 offset1:209
	ds_store_b128 v15, v[0:3] offset:48000
	ds_load_b128 v[0:3], v173 offset:19200
	ds_load_b128 v[16:19], v15 offset:44800
	v_add_nc_u32_e32 v14, 0x4800, v173
	s_wait_dscnt 0x0
	v_add_f64_e64 v[12:13], v[0:1], -v[16:17]
	v_add_f64_e32 v[22:23], v[2:3], v[18:19]
	v_add_f64_e64 v[2:3], v[2:3], -v[18:19]
	v_add_f64_e32 v[0:1], v[0:1], v[16:17]
	s_delay_alu instid0(VALU_DEP_4) | instskip(NEXT) | instid1(VALU_DEP_4)
	v_mul_f64_e32 v[12:13], 0.5, v[12:13]
	v_mul_f64_e32 v[18:19], 0.5, v[22:23]
	s_delay_alu instid0(VALU_DEP_4) | instskip(SKIP_1) | instid1(VALU_DEP_3)
	v_mul_f64_e32 v[2:3], 0.5, v[2:3]
	s_wait_loadcnt 0x1
	v_mul_f64_e32 v[16:17], v[12:13], v[10:11]
	s_delay_alu instid0(VALU_DEP_2) | instskip(SKIP_1) | instid1(VALU_DEP_3)
	v_fma_f64 v[22:23], v[18:19], v[10:11], v[2:3]
	v_fma_f64 v[2:3], v[18:19], v[10:11], -v[2:3]
	v_fma_f64 v[10:11], v[0:1], 0.5, v[16:17]
	v_fma_f64 v[0:1], v[0:1], 0.5, -v[16:17]
	s_delay_alu instid0(VALU_DEP_4) | instskip(NEXT) | instid1(VALU_DEP_4)
	v_fma_f64 v[16:17], -v[8:9], v[12:13], v[22:23]
	v_fma_f64 v[2:3], -v[8:9], v[12:13], v[2:3]
	s_delay_alu instid0(VALU_DEP_4) | instskip(NEXT) | instid1(VALU_DEP_4)
	v_fma_f64 v[12:13], v[18:19], v[8:9], v[10:11]
	v_fma_f64 v[0:1], -v[18:19], v[8:9], v[0:1]
	global_load_b128 v[8:11], v[20:21], off offset:25600
	ds_store_2addr_b64 v14, v[12:13], v[16:17] offset0:96 offset1:97
	ds_store_b128 v15, v[0:3] offset:44800
	ds_load_b128 v[0:3], v173 offset:22400
	ds_load_b128 v[16:19], v15 offset:41600
	v_add_nc_u32_e32 v14, 0x5000, v173
	s_wait_dscnt 0x0
	v_add_f64_e64 v[12:13], v[0:1], -v[16:17]
	v_add_f64_e32 v[22:23], v[2:3], v[18:19]
	v_add_f64_e64 v[2:3], v[2:3], -v[18:19]
	v_add_f64_e32 v[0:1], v[0:1], v[16:17]
	s_delay_alu instid0(VALU_DEP_4) | instskip(NEXT) | instid1(VALU_DEP_4)
	v_mul_f64_e32 v[12:13], 0.5, v[12:13]
	v_mul_f64_e32 v[18:19], 0.5, v[22:23]
	s_delay_alu instid0(VALU_DEP_4) | instskip(SKIP_1) | instid1(VALU_DEP_3)
	v_mul_f64_e32 v[2:3], 0.5, v[2:3]
	s_wait_loadcnt 0x1
	v_mul_f64_e32 v[16:17], v[12:13], v[6:7]
	s_delay_alu instid0(VALU_DEP_2) | instskip(SKIP_1) | instid1(VALU_DEP_3)
	v_fma_f64 v[22:23], v[18:19], v[6:7], v[2:3]
	v_fma_f64 v[2:3], v[18:19], v[6:7], -v[2:3]
	v_fma_f64 v[6:7], v[0:1], 0.5, v[16:17]
	v_fma_f64 v[0:1], v[0:1], 0.5, -v[16:17]
	s_delay_alu instid0(VALU_DEP_4) | instskip(NEXT) | instid1(VALU_DEP_4)
	v_fma_f64 v[16:17], -v[4:5], v[12:13], v[22:23]
	v_fma_f64 v[2:3], -v[4:5], v[12:13], v[2:3]
	s_delay_alu instid0(VALU_DEP_4) | instskip(NEXT) | instid1(VALU_DEP_4)
	v_fma_f64 v[12:13], v[18:19], v[4:5], v[6:7]
	v_fma_f64 v[0:1], -v[18:19], v[4:5], v[0:1]
	global_load_b128 v[4:7], v[20:21], off offset:28800
	ds_store_2addr_b64 v14, v[12:13], v[16:17] offset0:240 offset1:241
	ds_store_b128 v15, v[0:3] offset:41600
	ds_load_b128 v[0:3], v173 offset:25600
	ds_load_b128 v[16:19], v15 offset:38400
	s_wait_dscnt 0x0
	v_add_f64_e64 v[12:13], v[0:1], -v[16:17]
	v_add_f64_e32 v[20:21], v[2:3], v[18:19]
	v_add_f64_e64 v[2:3], v[2:3], -v[18:19]
	v_add_f64_e32 v[0:1], v[0:1], v[16:17]
	s_delay_alu instid0(VALU_DEP_4) | instskip(NEXT) | instid1(VALU_DEP_4)
	v_mul_f64_e32 v[12:13], 0.5, v[12:13]
	v_mul_f64_e32 v[18:19], 0.5, v[20:21]
	s_delay_alu instid0(VALU_DEP_4) | instskip(SKIP_1) | instid1(VALU_DEP_3)
	v_mul_f64_e32 v[2:3], 0.5, v[2:3]
	s_wait_loadcnt 0x1
	v_mul_f64_e32 v[16:17], v[12:13], v[10:11]
	s_delay_alu instid0(VALU_DEP_2) | instskip(SKIP_1) | instid1(VALU_DEP_3)
	v_fma_f64 v[20:21], v[18:19], v[10:11], v[2:3]
	v_fma_f64 v[2:3], v[18:19], v[10:11], -v[2:3]
	v_fma_f64 v[10:11], v[0:1], 0.5, v[16:17]
	v_fma_f64 v[0:1], v[0:1], 0.5, -v[16:17]
	s_delay_alu instid0(VALU_DEP_4) | instskip(NEXT) | instid1(VALU_DEP_4)
	v_fma_f64 v[16:17], -v[8:9], v[12:13], v[20:21]
	v_fma_f64 v[2:3], -v[8:9], v[12:13], v[2:3]
	s_delay_alu instid0(VALU_DEP_4) | instskip(NEXT) | instid1(VALU_DEP_4)
	v_fma_f64 v[10:11], v[18:19], v[8:9], v[10:11]
	v_fma_f64 v[0:1], -v[18:19], v[8:9], v[0:1]
	v_add_nc_u32_e32 v8, 0x6000, v173
	ds_store_2addr_b64 v8, v[10:11], v[16:17] offset0:128 offset1:129
	ds_store_b128 v15, v[0:3] offset:38400
	ds_load_b128 v[0:3], v173 offset:28800
	ds_load_b128 v[8:11], v15 offset:35200
	s_wait_dscnt 0x0
	v_add_f64_e64 v[12:13], v[0:1], -v[8:9]
	v_add_f64_e32 v[16:17], v[2:3], v[10:11]
	v_add_f64_e64 v[2:3], v[2:3], -v[10:11]
	v_add_f64_e32 v[0:1], v[0:1], v[8:9]
	s_delay_alu instid0(VALU_DEP_4) | instskip(NEXT) | instid1(VALU_DEP_4)
	v_mul_f64_e32 v[10:11], 0.5, v[12:13]
	v_mul_f64_e32 v[12:13], 0.5, v[16:17]
	s_delay_alu instid0(VALU_DEP_4) | instskip(SKIP_1) | instid1(VALU_DEP_3)
	v_mul_f64_e32 v[2:3], 0.5, v[2:3]
	s_wait_loadcnt 0x0
	v_mul_f64_e32 v[8:9], v[10:11], v[6:7]
	s_delay_alu instid0(VALU_DEP_2) | instskip(SKIP_1) | instid1(VALU_DEP_3)
	v_fma_f64 v[16:17], v[12:13], v[6:7], v[2:3]
	v_fma_f64 v[2:3], v[12:13], v[6:7], -v[2:3]
	v_fma_f64 v[6:7], v[0:1], 0.5, v[8:9]
	v_fma_f64 v[0:1], v[0:1], 0.5, -v[8:9]
	s_delay_alu instid0(VALU_DEP_4) | instskip(NEXT) | instid1(VALU_DEP_4)
	v_fma_f64 v[8:9], -v[4:5], v[10:11], v[16:17]
	v_fma_f64 v[2:3], -v[4:5], v[10:11], v[2:3]
	s_delay_alu instid0(VALU_DEP_4) | instskip(NEXT) | instid1(VALU_DEP_4)
	v_fma_f64 v[6:7], v[12:13], v[4:5], v[6:7]
	v_fma_f64 v[0:1], -v[12:13], v[4:5], v[0:1]
	v_add_nc_u32_e32 v4, 0x7000, v173
	ds_store_2addr_b64 v4, v[6:7], v[8:9] offset0:16 offset1:17
	ds_store_b128 v15, v[0:3] offset:35200
	global_wb scope:SCOPE_SE
	s_wait_dscnt 0x0
	s_barrier_signal -1
	s_barrier_wait -1
	global_inv scope:SCOPE_SE
	s_and_saveexec_b32 s0, vcc_lo
	s_cbranch_execz .LBB0_20
; %bb.18:
	v_mul_lo_u32 v2, s3, v46
	v_mul_lo_u32 v3, s2, v47
	v_mad_co_u64_u32 v[0:1], null, s2, v46, 0
	v_dual_mov_b32 v43, v45 :: v_dual_add_nc_u32 v44, 0xc8, v42
	v_lshlrev_b64_e32 v[14:15], 4, v[40:41]
	v_lshl_add_u32 v32, v42, 4, 0
	s_delay_alu instid0(VALU_DEP_3)
	v_lshlrev_b64_e32 v[16:17], 4, v[42:43]
	v_add3_u32 v1, v1, v3, v2
	v_lshlrev_b64_e32 v[18:19], 4, v[44:45]
	v_add_nc_u32_e32 v44, 0x190, v42
	ds_load_b128 v[2:5], v32
	ds_load_b128 v[6:9], v32 offset:3200
	ds_load_b128 v[10:13], v32 offset:6400
	v_lshlrev_b64_e32 v[0:1], 4, v[0:1]
	v_lshlrev_b64_e32 v[20:21], 4, v[44:45]
	v_add_nc_u32_e32 v44, 0x258, v42
	s_delay_alu instid0(VALU_DEP_3) | instskip(SKIP_1) | instid1(VALU_DEP_4)
	v_add_co_u32 v0, vcc_lo, s6, v0
	s_wait_alu 0xfffd
	v_add_co_ci_u32_e32 v1, vcc_lo, s7, v1, vcc_lo
	s_delay_alu instid0(VALU_DEP_2) | instskip(SKIP_1) | instid1(VALU_DEP_2)
	v_add_co_u32 v0, vcc_lo, v0, v14
	s_wait_alu 0xfffd
	v_add_co_ci_u32_e32 v1, vcc_lo, v1, v15, vcc_lo
	s_delay_alu instid0(VALU_DEP_2) | instskip(SKIP_1) | instid1(VALU_DEP_2)
	v_add_co_u32 v22, vcc_lo, v0, v16
	s_wait_alu 0xfffd
	v_add_co_ci_u32_e32 v23, vcc_lo, v1, v17, vcc_lo
	ds_load_b128 v[14:17], v32 offset:9600
	v_add_co_u32 v24, vcc_lo, v0, v18
	s_wait_alu 0xfffd
	v_add_co_ci_u32_e32 v25, vcc_lo, v1, v19, vcc_lo
	v_lshlrev_b64_e32 v[18:19], 4, v[44:45]
	v_add_nc_u32_e32 v44, 0x320, v42
	v_add_co_u32 v26, vcc_lo, v0, v20
	s_wait_alu 0xfffd
	v_add_co_ci_u32_e32 v27, vcc_lo, v1, v21, vcc_lo
	s_delay_alu instid0(VALU_DEP_4)
	v_add_co_u32 v28, vcc_lo, v0, v18
	v_lshlrev_b64_e32 v[30:31], 4, v[44:45]
	v_add_nc_u32_e32 v44, 0x3e8, v42
	s_wait_alu 0xfffd
	v_add_co_ci_u32_e32 v29, vcc_lo, v1, v19, vcc_lo
	ds_load_b128 v[18:21], v32 offset:60800
	s_wait_dscnt 0x4
	global_store_b128 v[22:23], v[2:5], off
	s_wait_dscnt 0x3
	global_store_b128 v[24:25], v[6:9], off
	v_lshlrev_b64_e32 v[22:23], 4, v[44:45]
	v_add_nc_u32_e32 v44, 0x4b0, v42
	ds_load_b128 v[2:5], v32 offset:12800
	s_wait_dscnt 0x3
	global_store_b128 v[26:27], v[10:13], off
	s_wait_dscnt 0x2
	global_store_b128 v[28:29], v[14:17], off
	ds_load_b128 v[6:9], v32 offset:16000
	ds_load_b128 v[10:13], v32 offset:19200
	;; [unrolled: 1-line block ×3, first 2 shown]
	v_lshlrev_b64_e32 v[26:27], 4, v[44:45]
	v_add_nc_u32_e32 v44, 0x578, v42
	v_add_co_u32 v24, vcc_lo, v0, v30
	s_wait_alu 0xfffd
	v_add_co_ci_u32_e32 v25, vcc_lo, v1, v31, vcc_lo
	v_add_co_u32 v22, vcc_lo, v0, v22
	v_lshlrev_b64_e32 v[28:29], 4, v[44:45]
	v_add_nc_u32_e32 v44, 0x640, v42
	s_wait_alu 0xfffd
	v_add_co_ci_u32_e32 v23, vcc_lo, v1, v23, vcc_lo
	v_add_co_u32 v26, vcc_lo, v0, v26
	s_wait_alu 0xfffd
	v_add_co_ci_u32_e32 v27, vcc_lo, v1, v27, vcc_lo
	v_add_co_u32 v28, vcc_lo, v0, v28
	v_lshlrev_b64_e32 v[30:31], 4, v[44:45]
	v_add_nc_u32_e32 v44, 0x708, v42
	s_wait_alu 0xfffd
	v_add_co_ci_u32_e32 v29, vcc_lo, v1, v29, vcc_lo
	s_wait_dscnt 0x3
	global_store_b128 v[24:25], v[2:5], off
	s_wait_dscnt 0x2
	global_store_b128 v[22:23], v[6:9], off
	ds_load_b128 v[2:5], v32 offset:25600
	v_lshlrev_b64_e32 v[22:23], 4, v[44:45]
	v_add_nc_u32_e32 v44, 0x7d0, v42
	s_wait_dscnt 0x2
	global_store_b128 v[26:27], v[10:13], off
	s_wait_dscnt 0x1
	global_store_b128 v[28:29], v[14:17], off
	ds_load_b128 v[6:9], v32 offset:28800
	ds_load_b128 v[10:13], v32 offset:32000
	;; [unrolled: 1-line block ×3, first 2 shown]
	v_add_co_u32 v24, vcc_lo, v0, v30
	v_lshlrev_b64_e32 v[26:27], 4, v[44:45]
	v_add_nc_u32_e32 v44, 0x898, v42
	s_wait_alu 0xfffd
	v_add_co_ci_u32_e32 v25, vcc_lo, v1, v31, vcc_lo
	v_add_co_u32 v22, vcc_lo, v0, v22
	s_delay_alu instid0(VALU_DEP_3)
	v_lshlrev_b64_e32 v[28:29], 4, v[44:45]
	v_add_nc_u32_e32 v44, 0x960, v42
	s_wait_alu 0xfffd
	v_add_co_ci_u32_e32 v23, vcc_lo, v1, v23, vcc_lo
	v_add_co_u32 v26, vcc_lo, v0, v26
	s_wait_alu 0xfffd
	v_add_co_ci_u32_e32 v27, vcc_lo, v1, v27, vcc_lo
	v_add_co_u32 v28, vcc_lo, v0, v28
	v_lshlrev_b64_e32 v[30:31], 4, v[44:45]
	v_add_nc_u32_e32 v44, 0xa28, v42
	s_wait_alu 0xfffd
	v_add_co_ci_u32_e32 v29, vcc_lo, v1, v29, vcc_lo
	s_wait_dscnt 0x3
	global_store_b128 v[24:25], v[2:5], off
	s_wait_dscnt 0x2
	global_store_b128 v[22:23], v[6:9], off
	ds_load_b128 v[2:5], v32 offset:38400
	v_lshlrev_b64_e32 v[22:23], 4, v[44:45]
	v_add_nc_u32_e32 v44, 0xaf0, v42
	s_wait_dscnt 0x2
	global_store_b128 v[26:27], v[10:13], off
	s_wait_dscnt 0x1
	global_store_b128 v[28:29], v[14:17], off
	ds_load_b128 v[6:9], v32 offset:41600
	ds_load_b128 v[10:13], v32 offset:44800
	;; [unrolled: 1-line block ×3, first 2 shown]
	v_add_co_u32 v24, vcc_lo, v0, v30
	v_lshlrev_b64_e32 v[26:27], 4, v[44:45]
	v_add_nc_u32_e32 v44, 0xbb8, v42
	s_wait_alu 0xfffd
	v_add_co_ci_u32_e32 v25, vcc_lo, v1, v31, vcc_lo
	v_add_co_u32 v22, vcc_lo, v0, v22
	s_delay_alu instid0(VALU_DEP_3)
	v_lshlrev_b64_e32 v[28:29], 4, v[44:45]
	s_wait_alu 0xfffd
	v_add_co_ci_u32_e32 v23, vcc_lo, v1, v23, vcc_lo
	v_add_nc_u32_e32 v44, 0xc80, v42
	v_add_co_u32 v26, vcc_lo, v0, v26
	s_wait_alu 0xfffd
	v_add_co_ci_u32_e32 v27, vcc_lo, v1, v27, vcc_lo
	v_add_co_u32 v28, vcc_lo, v0, v28
	v_lshlrev_b64_e32 v[30:31], 4, v[44:45]
	v_add_nc_u32_e32 v44, 0xd48, v42
	s_wait_alu 0xfffd
	v_add_co_ci_u32_e32 v29, vcc_lo, v1, v29, vcc_lo
	s_wait_dscnt 0x3
	global_store_b128 v[24:25], v[2:5], off
	s_wait_dscnt 0x2
	global_store_b128 v[22:23], v[6:9], off
	ds_load_b128 v[2:5], v32 offset:51200
	s_wait_dscnt 0x2
	global_store_b128 v[26:27], v[10:13], off
	s_wait_dscnt 0x1
	global_store_b128 v[28:29], v[14:17], off
	v_lshlrev_b64_e32 v[14:15], 4, v[44:45]
	v_add_nc_u32_e32 v44, 0xe10, v42
	ds_load_b128 v[6:9], v32 offset:54400
	ds_load_b128 v[10:13], v32 offset:57600
	v_add_co_u32 v16, vcc_lo, v0, v30
	s_wait_alu 0xfffd
	v_add_co_ci_u32_e32 v17, vcc_lo, v1, v31, vcc_lo
	v_lshlrev_b64_e32 v[22:23], 4, v[44:45]
	v_add_nc_u32_e32 v44, 0xed8, v42
	v_add_co_u32 v14, vcc_lo, v0, v14
	s_wait_alu 0xfffd
	v_add_co_ci_u32_e32 v15, vcc_lo, v1, v15, vcc_lo
	s_delay_alu instid0(VALU_DEP_3) | instskip(SKIP_3) | instid1(VALU_DEP_3)
	v_lshlrev_b64_e32 v[24:25], 4, v[44:45]
	v_add_co_u32 v22, vcc_lo, v0, v22
	s_wait_alu 0xfffd
	v_add_co_ci_u32_e32 v23, vcc_lo, v1, v23, vcc_lo
	v_add_co_u32 v24, vcc_lo, v0, v24
	s_wait_alu 0xfffd
	v_add_co_ci_u32_e32 v25, vcc_lo, v1, v25, vcc_lo
	v_cmp_eq_u32_e32 vcc_lo, 0xc7, v42
	s_wait_dscnt 0x2
	global_store_b128 v[16:17], v[2:5], off
	s_wait_dscnt 0x1
	global_store_b128 v[14:15], v[6:9], off
	s_wait_dscnt 0x0
	s_clause 0x1
	global_store_b128 v[22:23], v[10:13], off
	global_store_b128 v[24:25], v[18:21], off
	s_and_b32 exec_lo, exec_lo, vcc_lo
	s_cbranch_execz .LBB0_20
; %bb.19:
	v_mov_b32_e32 v2, 0
	ds_load_b128 v[2:5], v2 offset:64000
	s_wait_dscnt 0x0
	global_store_b128 v[0:1], v[2:5], off offset:64000
.LBB0_20:
	s_nop 0
	s_sendmsg sendmsg(MSG_DEALLOC_VGPRS)
	s_endpgm
	.section	.rodata,"a",@progbits
	.p2align	6, 0x0
	.amdhsa_kernel fft_rtc_fwd_len4000_factors_10_10_10_4_wgs_200_tpt_200_halfLds_dp_op_CI_CI_unitstride_sbrr_R2C_dirReg
		.amdhsa_group_segment_fixed_size 0
		.amdhsa_private_segment_fixed_size 0
		.amdhsa_kernarg_size 104
		.amdhsa_user_sgpr_count 2
		.amdhsa_user_sgpr_dispatch_ptr 0
		.amdhsa_user_sgpr_queue_ptr 0
		.amdhsa_user_sgpr_kernarg_segment_ptr 1
		.amdhsa_user_sgpr_dispatch_id 0
		.amdhsa_user_sgpr_private_segment_size 0
		.amdhsa_wavefront_size32 1
		.amdhsa_uses_dynamic_stack 0
		.amdhsa_enable_private_segment 0
		.amdhsa_system_sgpr_workgroup_id_x 1
		.amdhsa_system_sgpr_workgroup_id_y 0
		.amdhsa_system_sgpr_workgroup_id_z 0
		.amdhsa_system_sgpr_workgroup_info 0
		.amdhsa_system_vgpr_workitem_id 0
		.amdhsa_next_free_vgpr 221
		.amdhsa_next_free_sgpr 39
		.amdhsa_reserve_vcc 1
		.amdhsa_float_round_mode_32 0
		.amdhsa_float_round_mode_16_64 0
		.amdhsa_float_denorm_mode_32 3
		.amdhsa_float_denorm_mode_16_64 3
		.amdhsa_fp16_overflow 0
		.amdhsa_workgroup_processor_mode 1
		.amdhsa_memory_ordered 1
		.amdhsa_forward_progress 0
		.amdhsa_round_robin_scheduling 0
		.amdhsa_exception_fp_ieee_invalid_op 0
		.amdhsa_exception_fp_denorm_src 0
		.amdhsa_exception_fp_ieee_div_zero 0
		.amdhsa_exception_fp_ieee_overflow 0
		.amdhsa_exception_fp_ieee_underflow 0
		.amdhsa_exception_fp_ieee_inexact 0
		.amdhsa_exception_int_div_zero 0
	.end_amdhsa_kernel
	.text
.Lfunc_end0:
	.size	fft_rtc_fwd_len4000_factors_10_10_10_4_wgs_200_tpt_200_halfLds_dp_op_CI_CI_unitstride_sbrr_R2C_dirReg, .Lfunc_end0-fft_rtc_fwd_len4000_factors_10_10_10_4_wgs_200_tpt_200_halfLds_dp_op_CI_CI_unitstride_sbrr_R2C_dirReg
                                        ; -- End function
	.section	.AMDGPU.csdata,"",@progbits
; Kernel info:
; codeLenInByte = 16308
; NumSgprs: 41
; NumVgprs: 221
; ScratchSize: 0
; MemoryBound: 0
; FloatMode: 240
; IeeeMode: 1
; LDSByteSize: 0 bytes/workgroup (compile time only)
; SGPRBlocks: 5
; VGPRBlocks: 27
; NumSGPRsForWavesPerEU: 41
; NumVGPRsForWavesPerEU: 221
; Occupancy: 6
; WaveLimiterHint : 1
; COMPUTE_PGM_RSRC2:SCRATCH_EN: 0
; COMPUTE_PGM_RSRC2:USER_SGPR: 2
; COMPUTE_PGM_RSRC2:TRAP_HANDLER: 0
; COMPUTE_PGM_RSRC2:TGID_X_EN: 1
; COMPUTE_PGM_RSRC2:TGID_Y_EN: 0
; COMPUTE_PGM_RSRC2:TGID_Z_EN: 0
; COMPUTE_PGM_RSRC2:TIDIG_COMP_CNT: 0
	.text
	.p2alignl 7, 3214868480
	.fill 96, 4, 3214868480
	.type	__hip_cuid_14029f951798591,@object ; @__hip_cuid_14029f951798591
	.section	.bss,"aw",@nobits
	.globl	__hip_cuid_14029f951798591
__hip_cuid_14029f951798591:
	.byte	0                               ; 0x0
	.size	__hip_cuid_14029f951798591, 1

	.ident	"AMD clang version 19.0.0git (https://github.com/RadeonOpenCompute/llvm-project roc-6.4.0 25133 c7fe45cf4b819c5991fe208aaa96edf142730f1d)"
	.section	".note.GNU-stack","",@progbits
	.addrsig
	.addrsig_sym __hip_cuid_14029f951798591
	.amdgpu_metadata
---
amdhsa.kernels:
  - .args:
      - .actual_access:  read_only
        .address_space:  global
        .offset:         0
        .size:           8
        .value_kind:     global_buffer
      - .offset:         8
        .size:           8
        .value_kind:     by_value
      - .actual_access:  read_only
        .address_space:  global
        .offset:         16
        .size:           8
        .value_kind:     global_buffer
      - .actual_access:  read_only
        .address_space:  global
        .offset:         24
        .size:           8
        .value_kind:     global_buffer
      - .actual_access:  read_only
        .address_space:  global
        .offset:         32
        .size:           8
        .value_kind:     global_buffer
      - .offset:         40
        .size:           8
        .value_kind:     by_value
      - .actual_access:  read_only
        .address_space:  global
        .offset:         48
        .size:           8
        .value_kind:     global_buffer
      - .actual_access:  read_only
        .address_space:  global
        .offset:         56
        .size:           8
        .value_kind:     global_buffer
      - .offset:         64
        .size:           4
        .value_kind:     by_value
      - .actual_access:  read_only
        .address_space:  global
        .offset:         72
        .size:           8
        .value_kind:     global_buffer
      - .actual_access:  read_only
        .address_space:  global
        .offset:         80
        .size:           8
        .value_kind:     global_buffer
      - .actual_access:  read_only
        .address_space:  global
        .offset:         88
        .size:           8
        .value_kind:     global_buffer
      - .actual_access:  write_only
        .address_space:  global
        .offset:         96
        .size:           8
        .value_kind:     global_buffer
    .group_segment_fixed_size: 0
    .kernarg_segment_align: 8
    .kernarg_segment_size: 104
    .language:       OpenCL C
    .language_version:
      - 2
      - 0
    .max_flat_workgroup_size: 200
    .name:           fft_rtc_fwd_len4000_factors_10_10_10_4_wgs_200_tpt_200_halfLds_dp_op_CI_CI_unitstride_sbrr_R2C_dirReg
    .private_segment_fixed_size: 0
    .sgpr_count:     41
    .sgpr_spill_count: 0
    .symbol:         fft_rtc_fwd_len4000_factors_10_10_10_4_wgs_200_tpt_200_halfLds_dp_op_CI_CI_unitstride_sbrr_R2C_dirReg.kd
    .uniform_work_group_size: 1
    .uses_dynamic_stack: false
    .vgpr_count:     221
    .vgpr_spill_count: 0
    .wavefront_size: 32
    .workgroup_processor_mode: 1
amdhsa.target:   amdgcn-amd-amdhsa--gfx1201
amdhsa.version:
  - 1
  - 2
...

	.end_amdgpu_metadata
